;; amdgpu-corpus repo=ROCm/aiter kind=harvested arch=n/a opt=n/a

/root/src/amdgpu-assembly/repos/ROCm__aiter/hsa/gfx942/fp8gemm_blockscale/fp8gemm_bf16_blockscale_BpreShuffle_32x128.co:	file format elf64-amdgpu

Disassembly of section .text:

0000000000002300 <_ZN5aiter42fp8gemm_bf16_blockscale_BpreShuffle_32x128E>:
	s_and_b32 s1, s1, 0xffff                                   // 000000002300: 8601FF01 0000FFFF
	s_load_dwordx2 s[16:17], s[0:1], 0x0                       // 000000002308: C0060400 00000000
	s_load_dwordx2 s[4:5], s[0:1], 0x10                        // 000000002310: C0060100 00000010
	s_load_dwordx2 s[8:9], s[0:1], 0x20                        // 000000002318: C0060200 00000020
	s_load_dwordx2 s[20:21], s[0:1], 0x30                      // 000000002320: C0060500 00000030
	s_load_dwordx2 s[24:25], s[0:1], 0x40                      // 000000002328: C0060600 00000040
	s_load_dwordx2 s[28:29], s[0:1], 0x50                      // 000000002330: C0060700 00000050
	s_load_dword s32, s[0:1], 0x60                             // 000000002338: C0020800 00000060
	s_load_dword s33, s[0:1], 0x70                             // 000000002340: C0020840 00000070
	s_load_dword s34, s[0:1], 0x80                             // 000000002348: C0020880 00000080
	s_load_dword s35, s[0:1], 0x90                             // 000000002350: C00208C0 00000090
	s_load_dword s36, s[0:1], 0xa0                             // 000000002358: C0020900 000000A0
	s_load_dword s37, s[0:1], 0xb0                             // 000000002360: C0020940 000000B0
	s_load_dword s38, s[0:1], 0xc0                             // 000000002368: C0020980 000000C0
	s_load_dword s39, s[0:1], 0xd0                             // 000000002370: C00209C0 000000D0
	s_load_dword s40, s[0:1], 0xe0                             // 000000002378: C0020A00 000000E0
	s_load_dword s41, s[0:1], 0xf0                             // 000000002380: C0020A40 000000F0
	v_lshrrev_b32_e32 v1, 10, v0                               // 000000002388: 2002008A
	v_lshrrev_b32_e32 v2, 10, v1                               // 00000000238C: 2004028A
	v_and_b32_e32 v2, 0x3ff, v2                                // 000000002390: 260404FF 000003FF
	v_and_b32_e32 v1, 0x3ff, v1                                // 000000002398: 260202FF 000003FF
	v_and_b32_e32 v0, 0x3ff, v0                                // 0000000023A0: 260000FF 000003FF
	v_lshrrev_b32_e32 v3, 6, v0                                // 0000000023A8: 20060086
	v_and_b32_e32 v0, 63, v0                                   // 0000000023AC: 260000BF
	s_mov_b32 s44, s2                                          // 0000000023B0: BEAC0002
	s_mov_b32 s45, s3                                          // 0000000023B4: BEAD0003
	s_waitcnt lgkmcnt(0)                                       // 0000000023B8: BF8CC07F
	v_readfirstlane_b32 s47, v3                                // 0000000023BC: 7E5E0503
	s_mov_b32 s6, 0x80000000                                   // 0000000023C0: BE8600FF 80000000
	s_mov_b32 s10, 0x80000000                                  // 0000000023C8: BE8A00FF 80000000
	s_mov_b32 s22, 0x80000000                                  // 0000000023D0: BE9600FF 80000000
	s_mov_b32 s26, 0x80000000                                  // 0000000023D8: BE9A00FF 80000000
	s_mov_b32 s30, 0x80000000                                  // 0000000023E0: BE9E00FF 80000000
	s_mov_b32 s7, 0x20000                                      // 0000000023E8: BE8700FF 00020000
	s_mov_b32 s11, 0x20000                                     // 0000000023F0: BE8B00FF 00020000
	s_mov_b32 s23, 0x20000                                     // 0000000023F8: BE9700FF 00020000
	s_mov_b32 s27, 0x20000                                     // 000000002400: BE9B00FF 00020000
	s_mov_b32 s31, 0x20000                                     // 000000002408: BE9F00FF 00020000
	s_and_b32 s5, s5, 0xffff                                   // 000000002410: 8605FF05 0000FFFF
	s_and_b32 s9, s9, 0xffff                                   // 000000002418: 8609FF09 0000FFFF
	s_and_b32 s21, s21, 0xffff                                 // 000000002420: 8615FF15 0000FFFF
	s_and_b32 s25, s25, 0xffff                                 // 000000002428: 8619FF19 0000FFFF
	s_and_b32 s29, s29, 0xffff                                 // 000000002430: 861DFF1D 0000FFFF
	s_or_b32 s5, s5, 0x40000                                   // 000000002438: 8705FF05 00040000
	s_or_b32 s9, s9, 0x40000                                   // 000000002440: 8709FF09 00040000
	s_or_b32 s21, s21, 0x40000                                 // 000000002448: 8715FF15 00040000
	s_or_b32 s25, s25, 0x40000                                 // 000000002450: 8719FF19 00040000
	s_or_b32 s29, s29, 0x40000                                 // 000000002458: 871DFF1D 00040000
	s_mov_b32 s61, s44                                         // 000000002460: BEBD002C
	s_mov_b32 s62, s38                                         // 000000002464: BEBE0026
	v_cvt_f32_u32_e32 v4, s62                                  // 000000002468: 7E080C3E
	s_sub_i32 s50, 0, s62                                      // 00000000246C: 81B23E80
	v_rcp_iflag_f32_e32 v4, v4                                 // 000000002470: 7E084704
	s_nop 0                                                    // 000000002474: BF800000
	v_mul_f32_e32 v4, 0x4f7ffffe, v4                           // 000000002478: 0A0808FF 4F7FFFFE
	v_cvt_u32_f32_e32 v4, v4                                   // 000000002480: 7E080F04
	v_mul_lo_u32 v5, s50, v4                                   // 000000002484: D2850005 00020832
	v_mul_hi_u32 v5, v4, v5                                    // 00000000248C: D2860005 00020B04
	v_add_u32_e32 v4, v4, v5                                   // 000000002494: 68080B04
	v_mul_hi_u32 v4, s61, v4                                   // 000000002498: D2860004 0002083D
	v_mul_lo_u32 v5, v4, s62                                   // 0000000024A0: D2850005 00007D04
	v_sub_u32_e32 v7, s61, v5                                  // 0000000024A8: 6A0E0A3D
	v_add_u32_e32 v6, 1, v4                                    // 0000000024AC: 680C0881
	v_cmp_le_u32_e32 vcc, s62, v7                              // 0000000024B0: 7D960E3E
	v_subrev_u32_e32 v5, s62, v7                               // 0000000024B4: 6C0A0E3E
	s_nop 0                                                    // 0000000024B8: BF800000
	v_cndmask_b32_e32 v4, v4, v6, vcc                          // 0000000024BC: 00080D04
	v_cndmask_b32_e32 v7, v7, v5, vcc                          // 0000000024C0: 000E0B07
	v_add_u32_e32 v5, 1, v4                                    // 0000000024C4: 680A0881
	v_cmp_le_u32_e32 vcc, s62, v7                              // 0000000024C8: 7D960E3E
	s_nop 1                                                    // 0000000024CC: BF800001
	v_cndmask_b32_e32 v7, v4, v5, vcc                          // 0000000024D0: 000E0B04
	s_nop 3                                                    // 0000000024D4: BF800003
	v_readfirstlane_b32 s63, v7                                // 0000000024D8: 7E7E0507
	s_nop 3                                                    // 0000000024DC: BF800003
	s_mov_b32 s44, s63                                         // 0000000024E0: BEAC003F
	s_mul_i32 s50, s44, s38                                    // 0000000024E4: 9232262C
	s_sub_u32 s75, s61, s50                                    // 0000000024E8: 80CB323D
	s_mov_b32 s61, s34                                         // 0000000024EC: BEBD0022
	s_mov_b32 s62, s38                                         // 0000000024F0: BEBE0026
	v_cvt_f32_u32_e32 v4, s62                                  // 0000000024F4: 7E080C3E
	s_sub_i32 s50, 0, s62                                      // 0000000024F8: 81B23E80
	v_rcp_iflag_f32_e32 v4, v4                                 // 0000000024FC: 7E084704
	s_nop 0                                                    // 000000002500: BF800000
	v_mul_f32_e32 v4, 0x4f7ffffe, v4                           // 000000002504: 0A0808FF 4F7FFFFE
	v_cvt_u32_f32_e32 v4, v4                                   // 00000000250C: 7E080F04
	v_mul_lo_u32 v5, s50, v4                                   // 000000002510: D2850005 00020832
	v_mul_hi_u32 v5, v4, v5                                    // 000000002518: D2860005 00020B04
	v_add_u32_e32 v4, v4, v5                                   // 000000002520: 68080B04
	v_mul_hi_u32 v4, s61, v4                                   // 000000002524: D2860004 0002083D
	v_mul_lo_u32 v5, v4, s62                                   // 00000000252C: D2850005 00007D04
	v_sub_u32_e32 v7, s61, v5                                  // 000000002534: 6A0E0A3D
	v_add_u32_e32 v6, 1, v4                                    // 000000002538: 680C0881
	v_cmp_le_u32_e32 vcc, s62, v7                              // 00000000253C: 7D960E3E
	v_subrev_u32_e32 v5, s62, v7                               // 000000002540: 6C0A0E3E
	s_nop 0                                                    // 000000002544: BF800000
	v_cndmask_b32_e32 v4, v4, v6, vcc                          // 000000002548: 00080D04
	v_cndmask_b32_e32 v7, v7, v5, vcc                          // 00000000254C: 000E0B07
	v_add_u32_e32 v5, 1, v4                                    // 000000002550: 680A0881
	v_cmp_le_u32_e32 vcc, s62, v7                              // 000000002554: 7D960E3E
	s_nop 1                                                    // 000000002558: BF800001
	v_cndmask_b32_e32 v7, v4, v5, vcc                          // 00000000255C: 000E0B04
	s_nop 3                                                    // 000000002560: BF800003
	v_readfirstlane_b32 s63, v7                                // 000000002564: 7E7E0507
	s_nop 3                                                    // 000000002568: BF800003
	s_add_u32 s63, 0x7f, s63                                   // 00000000256C: 803F3FFF 0000007F
	s_lshr_b32 s63, s63, 7                                     // 000000002574: 8F3F873F
	s_lshl_b32 s76, s63, 7                                     // 000000002578: 8E4C873F
	s_mul_i32 s51, s76, s75                                    // 00000000257C: 92334B4C
	s_sub_i32 s50, s34, s51                                    // 000000002580: 81B23322
	s_cmp_lt_i32 s50, s76                                      // 000000002584: BF044C32
	s_cselect_b32 s34, s50, s76                                // 000000002588: 85224C32
	s_mul_i32 s50, s45, 32                                     // 00000000258C: 9232A02D
	s_mul_i32 s51, s50, s37                                    // 000000002590: 92332532
	s_mul_hi_u32 s52, s50, s37                                 // 000000002594: 96342532
	s_add_u32 s16, s16, s51                                    // 000000002598: 80103310
	s_addc_u32 s17, s17, s52                                   // 00000000259C: 82113411
	s_mul_i32 s50, s44, 0x80                                   // 0000000025A0: 9232FF2C 00000080
	s_mul_i32 s51, s50, 2                                      // 0000000025A8: 92338232
	s_mul_hi_u32 s52, s50, 2                                   // 0000000025AC: 96348232
	s_add_u32 s16, s16, s51                                    // 0000000025B0: 80103310
	s_addc_u32 s17, s17, s52                                   // 0000000025B4: 82113411
	s_mov_b32 s80, s16                                         // 0000000025B8: BED00010
	s_mov_b32 s81, s17                                         // 0000000025BC: BED10011
	s_mul_i32 s50, s45, 32                                     // 0000000025C0: 9232A02D
	s_sub_i32 s51, s32, s50                                    // 0000000025C4: 81B33220
	s_cmp_lt_u32 s51, 32                                       // 0000000025C8: BF0AA033
	s_cselect_b32 s50, s51, 32                                 // 0000000025CC: 8532A033
	s_mul_i32 s51, s50, s37                                    // 0000000025D0: 92332532
	s_mov_b32 s18, s51                                         // 0000000025D4: BE920033
	s_mov_b32 s82, 0x80000000                                  // 0000000025D8: BED200FF 80000000
	s_mov_b32 s19, 0x20000                                     // 0000000025E0: BE9300FF 00020000
	s_and_b32 s17, s17, 0xffff                                 // 0000000025E8: 8611FF11 0000FFFF
	s_and_b32 s81, s81, 0xffff                                 // 0000000025F0: 8651FF51 0000FFFF
	s_or_b32 s17, s17, 0x40000                                 // 0000000025F8: 8711FF11 00040000
	s_mov_b32 s48, 0x7060302                                   // 000000002600: BEB000FF 07060302
	v_mov_b32_e32 v9, 0xffff0000                               // 000000002608: 7E1202FF FFFF0000
	v_mov_b32_e32 v10, 0x7fff0000                              // 000000002610: 7E1402FF 7FFF0000
	v_mov_b32_e32 v11, 0x7fff                                  // 000000002618: 7E1602FF 00007FFF
	s_mul_i32 s50, 0x80, s44                                   // 000000002620: 92322CFF 00000080
	s_mul_hi_u32 s51, 4, s50                                   // 000000002628: 96333284
	s_add_u32 s29, s29, s51                                    // 00000000262C: 801D331D
	s_mul_i32 s51, 4, s50                                      // 000000002630: 92333284
	s_add_u32 s28, s28, s51                                    // 000000002634: 801C331C
	s_addc_u32 s29, s29, 0                                     // 000000002638: 821D801D
	s_sub_i32 s51, s33, s50                                    // 00000000263C: 81B33221
	s_cmp_lt_u32 s51, 0x80                                     // 000000002640: BF0AFF33 00000080
	s_cselect_b32 s50, s51, 0x80                               // 000000002648: 8532FF33 00000080
	s_mul_i32 s51, 4, s50                                      // 000000002650: 92333284
	s_mov_b32 s30, s51                                         // 000000002654: BE9E0033
	s_mov_b32 s31, 0x20000                                     // 000000002658: BE9F00FF 00020000
	v_lshrrev_b32_e32 v4, 4, v0                                // 000000002660: 20080084
	v_lshlrev_b32_e32 v4, 4, v4                                // 000000002664: 24080884
	s_mul_i32 s52, s47, 0x80                                   // 000000002668: 9234FF2F 00000080
	v_add_u32_e64 v4, v4, s52                                  // 000000002670: D1340004 00006904
	v_add_u32_e64 v5, v4, 64                                   // 000000002678: D1340005 00018104
	buffer_load_dwordx4 v[12:15], v4, s[28:31], 0 offen        // 000000002680: E05C1000 80070C04
	buffer_load_dwordx4 v[16:19], v5, s[28:31], 0 offen        // 000000002688: E05C1000 80071005
	s_mul_i32 s50, 32, s45                                     // 000000002690: 92322DA0
	s_mul_hi_u32 s52, 4, s50                                   // 000000002694: 96343284
	s_mul_i32 s51, 4, s50                                      // 000000002698: 92333284
	s_add_u32 s20, s20, s51                                    // 00000000269C: 80143314
	s_addc_u32 s21, s21, s52                                   // 0000000026A0: 82153415
	s_sub_i32 s51, s32, s50                                    // 0000000026A4: 81B33220
	s_cmp_lt_u32 s51, 32                                       // 0000000026A8: BF0AA033
	s_cselect_b32 s50, s51, 32                                 // 0000000026AC: 8532A033
	s_lshl_b32 s51, s50, 2                                     // 0000000026B0: 8E338232
	s_mov_b32 s22, s51                                         // 0000000026B4: BE960033
	s_mov_b32 s23, 0x20000                                     // 0000000026B8: BE9700FF 00020000
	s_lshr_b32 s50, s76, 7                                     // 0000000026C0: 8F32874C
	s_mul_i32 s50, s50, s75                                    // 0000000026C4: 92324B32
	s_mul_i32 s51, s50, s32                                    // 0000000026C8: 92332032
	s_mul_hi_u32 s52, s50, s32                                 // 0000000026CC: 96342032
	s_lshr_b32 s50, s51, 30                                    // 0000000026D0: 8F329E33
	s_lshl_b32 s51, s51, 2                                     // 0000000026D4: 8E338233
	s_lshl_b32 s52, s52, 2                                     // 0000000026D8: 8E348234
	s_add_u32 s52, s52, s50                                    // 0000000026DC: 80343234
	s_add_u32 s20, s20, s51                                    // 0000000026E0: 80143314
	s_addc_u32 s21, s21, s52                                   // 0000000026E4: 82153415
	v_and_b32_e64 v83, v0, 15                                  // 0000000026E8: D1130053 00011F00
	v_lshlrev_b32_e32 v83, 2, v83                              // 0000000026F0: 24A6A682
	s_mov_b32 s50, 64                                          // 0000000026F4: BEB200C0
	v_add_u32_e64 v84, v83, s50                                // 0000000026F8: D1340054 00006553
	s_mul_i32 s51, s41, s44                                    // 000000002700: 92332C29
	s_mul_hi_u32 s52, 4, s51                                   // 000000002704: 96343384
	s_add_u32 s25, s25, s52                                    // 000000002708: 80193419
	s_mul_i32 s52, 4, s51                                      // 00000000270C: 92343384
	s_add_u32 s24, s24, s52                                    // 000000002710: 80183418
	s_addc_u32 s25, s25, 0                                     // 000000002714: 82198019
	s_lshr_b32 s50, s76, 7                                     // 000000002718: 8F32874C
	s_mul_i32 s50, s50, s75                                    // 00000000271C: 92324B32
	s_lshl_b32 s50, s50, 2                                     // 000000002720: 8E328232
	s_add_u32 s24, s24, s50                                    // 000000002724: 80183218
	s_addc_u32 s25, s25, 0                                     // 000000002728: 82198019
	s_sub_u32 s26, s26, s50                                    // 00000000272C: 809A321A
	v_mov_b32_e32 v87, 0                                       // 000000002730: 7EAE0280
	v_lshrrev_b32_e32 v4, 5, v0                                // 000000002734: 20080085
	v_lshlrev_b32_e32 v4, 2, v4                                // 000000002738: 24080882
	v_mul_i32_i24_e32 v4, s35, v4                              // 00000000273C: 0C080823
	v_and_b32_e32 v30, 31, v0                                  // 000000002740: 263C009F
	v_lshlrev_b32_e32 v30, 2, v30                              // 000000002744: 243C3C82
	s_mul_i32 s50, 32, s45                                     // 000000002748: 92322DA0
	s_sub_i32 s51, s32, s50                                    // 00000000274C: 81B33220
	s_cmp_lt_u32 s51, 32                                       // 000000002750: BF0AA033
	s_cselect_b32 s51, s51, 32                                 // 000000002754: 8533A033
	s_mul_i32 s52, s35, s50                                    // 000000002758: 92343223
	s_mul_hi_u32 s50, s35, s50                                 // 00000000275C: 96323223
	s_add_u32 s4, s4, s52                                      // 000000002760: 80043404
	s_addc_u32 s5, s5, s50                                     // 000000002764: 82053205
	s_mul_i32 s50, s35, s51                                    // 000000002768: 92323323
	s_mov_b32 s6, s50                                          // 00000000276C: BE860032
	s_mov_b32 s7, 0x20000                                      // 000000002770: BE8700FF 00020000
	s_mul_i32 s51, s76, s75                                    // 000000002778: 92334B4C
	s_add_u32 s4, s51, s4                                      // 00000000277C: 80040433
	s_addc_u32 s5, 0, s5                                       // 000000002780: 82050580
	s_sub_u32 s6, s6, s51                                      // 000000002784: 80863306
	s_mul_i32 s50, s35, s47                                    // 000000002788: 92322F23
	v_add3_u32 v30, v4, v30, s50                               // 00000000278C: D1FF001E 00CA3D04
	s_lshl_b32 s50, s35, 3                                     // 000000002794: 8E328323
	v_add_u32_e32 v31, s50, v30                                // 000000002798: 683E3C32
	v_add_u32_e32 v32, s50, v31                                // 00000000279C: 68403E32
	v_add_u32_e32 v33, s50, v32                                // 0000000027A0: 68424032
	s_mov_b32 s54, 0x80                                        // 0000000027A4: BEB600FF 00000080
	s_mul_i32 s56, s32, 4                                      // 0000000027AC: 92388420
	s_mov_b32 s57, 4                                           // 0000000027B0: BEB90084
	s_mov_b32 s50, 32                                          // 0000000027B4: BEB200A0
	s_lshr_b32 s50, s50, 2                                     // 0000000027B8: 8F328232
	s_mul_i32 s50, s50, 32                                     // 0000000027BC: 9232A032
	s_mov_b32 s51, 8                                           // 0000000027C0: BEB30088
	s_add_u32 s50, s50, s51                                    // 0000000027C4: 80323332
	v_lshrrev_b32_e32 v4, 4, v0                                // 0000000027C8: 20080084
	v_and_b32_e32 v5, 15, v0                                   // 0000000027CC: 260A008F
	v_and_b32_e32 v6, 3, v5                                    // 0000000027D0: 260C0A83
	v_lshrrev_b32_e32 v7, 2, v5                                // 0000000027D4: 200E0A82
	v_lshlrev_b32_e32 v4, 2, v4                                // 0000000027D8: 24080882
	v_mul_lo_u32 v6, v6, s50                                   // 0000000027DC: D2850006 00006506
	v_lshlrev_b32_e32 v7, 5, v7                                // 0000000027E4: 240E0E85
	v_add_u32_e32 v4, v4, v6                                   // 0000000027E8: 68080D04
	v_add_u32_e32 v4, v4, v7                                   // 0000000027EC: 68080F04
	v_lshlrev_b32_e32 v34, 2, v4                               // 0000000027F0: 24440882
	s_mul_i32 s50, 0x420, s47                                  // 0000000027F4: 92322FFF 00000420
	s_add_u32 s58, 0, s50                                      // 0000000027FC: 803A3280
	s_add_u32 s59, 0x1080, s58                                 // 000000002800: 803B3AFF 00001080
	s_add_u32 s60, 0x1080, s59                                 // 000000002808: 803C3BFF 00001080
	s_mov_b32 s55, 0x800                                       // 000000002810: BEB700FF 00000800
	s_mul_i32 s49, 0x80, s44                                   // 000000002818: 92312CFF 00000080
	s_sub_i32 s51, s33, s49                                    // 000000002820: 81B33121
	s_cmp_lt_u32 s51, 0x80                                     // 000000002824: BF0AFF33 00000080
	s_cselect_b32 s50, s51, 0x80                               // 00000000282C: 8532FF33 00000080
	s_mul_i32 s51, s36, s49                                    // 000000002834: 92333124
	s_mul_hi_u32 s52, s36, s49                                 // 000000002838: 96343124
	s_add_u32 s8, s8, s51                                      // 00000000283C: 80083308
	s_addc_u32 s9, s9, s52                                     // 000000002840: 82093409
	s_mul_i32 s51, s36, s50                                    // 000000002844: 92333224
	s_mov_b32 s10, s51                                         // 000000002848: BE8A0033
	s_mov_b32 s11, 0x20000                                     // 00000000284C: BE8B00FF 00020000
	s_lshr_b32 s51, s76, 7                                     // 000000002854: 8F33874C
	s_mul_i32 s50, s55, s75                                    // 000000002858: 92324B37
	s_mul_i32 s50, s51, s50                                    // 00000000285C: 92323233
	s_add_u32 s8, s50, s8                                      // 000000002860: 80080832
	s_addc_u32 s9, 0, s9                                       // 000000002864: 82090980
	s_sub_u32 s10, s10, s50                                    // 000000002868: 808A320A
	s_lshl_b32 s50, s47, 5                                     // 00000000286C: 8E32852F
	s_mul_i32 s50, s36, s50                                    // 000000002870: 92323224
	v_lshlrev_b32_e32 v26, 4, v0                               // 000000002874: 24340084
	v_add_u32_e32 v26, s50, v26                                // 000000002878: 68343432
	s_mov_b32 s50, 0x400                                       // 00000000287C: BEB200FF 00000400
	v_add_u32_e64 v27, v26, s50                                // 000000002884: D134001B 0000651A
	s_mul_i32 s50, s36, 16                                     // 00000000288C: 92329024
	v_add_u32_e64 v28, v26, s50                                // 000000002890: D134001C 0000651A
	v_add_u32_e64 v29, v27, s50                                // 000000002898: D134001D 0000651B
	s_add_u32 m0, 0, s58                                       // 0000000028A0: 807C3A80
	buffer_load_dword v30, s[4:7], 0 offen lds                 // 0000000028A4: E0511000 8001001E
	s_add_u32 m0, 0x100, s58                                   // 0000000028AC: 807C3AFF 00000100
	buffer_load_dword v31, s[4:7], 0 offen lds                 // 0000000028B4: E0511000 8001001F
	s_add_u32 m0, 0x200, s58                                   // 0000000028BC: 807C3AFF 00000200
	buffer_load_dword v32, s[4:7], 0 offen lds                 // 0000000028C4: E0511000 80010020
	s_add_u32 m0, 0x300, s58                                   // 0000000028CC: 807C3AFF 00000300
	buffer_load_dword v33, s[4:7], 0 offen lds                 // 0000000028D4: E0511000 80010021
	s_mov_b32 s53, 0                                           // 0000000028DC: BEB50080
	s_add_u32 s50, 0x80, s53                                   // 0000000028E0: 803235FF 00000080
	s_cmp_lt_u32 s50, s34                                      // 0000000028E8: BF0A2232
	s_cselect_b32 s54, s54, 0                                  // 0000000028EC: 85368036
	s_add_u32 s4, s54, s4                                      // 0000000028F0: 80040436
	s_addc_u32 s5, 0, s5                                       // 0000000028F4: 82050580
	s_sub_u32 s6, s6, s54                                      // 0000000028F8: 80863606
	buffer_load_dword v68, v83, s[20:23], 0 offen              // 0000000028FC: E0501000 80054453
	buffer_load_dword v69, v84, s[20:23], 0 offen              // 000000002904: E0501000 80054554
	s_add_u32 s50, 0x80, s53                                   // 00000000290C: 803235FF 00000080
	s_cmp_lt_u32 s50, s34                                      // 000000002914: BF0A2232
	s_cselect_b32 s56, s56, 0                                  // 000000002918: 85388038
	s_add_u32 s20, s56, s20                                    // 00000000291C: 80141438
	s_addc_u32 s21, 0, s21                                     // 000000002920: 82151580
	v_mov_b32_e32 v52, 0                                       // 000000002924: 7E680280
	v_mov_b32_e32 v53, 0                                       // 000000002928: 7E6A0280
	v_mov_b32_e32 v54, 0                                       // 00000000292C: 7E6C0280
	v_mov_b32_e32 v55, 0                                       // 000000002930: 7E6E0280
	v_mov_b32_e32 v56, 0                                       // 000000002934: 7E700280
	v_mov_b32_e32 v57, 0                                       // 000000002938: 7E720280
	v_mov_b32_e32 v58, 0                                       // 00000000293C: 7E740280
	v_mov_b32_e32 v59, 0                                       // 000000002940: 7E760280
	buffer_load_dwordx4 a[0:3], v26, s[8:11], 0 offen          // 000000002944: E05C1000 8082001A
	buffer_load_dwordx4 a[4:7], v27, s[8:11], 0 offen          // 00000000294C: E05C1000 8082041B
	buffer_load_dwordx4 a[8:11], v28, s[8:11], 0 offen         // 000000002954: E05C1000 8082081C
	buffer_load_dwordx4 a[12:15], v29, s[8:11], 0 offen        // 00000000295C: E05C1000 80820C1D
	s_mov_b32 s53, 0                                           // 000000002964: BEB50080
	s_add_u32 s50, 0x80, s53                                   // 000000002968: 803235FF 00000080
	s_cmp_lt_u32 s50, s34                                      // 000000002970: BF0A2232
	s_cselect_b32 s55, s55, 0                                  // 000000002974: 85378037
	s_add_u32 s8, s55, s8                                      // 000000002978: 80080837
	s_addc_u32 s9, 0, s9                                       // 00000000297C: 82090980
	s_sub_u32 s10, s10, s55                                    // 000000002980: 808A370A
	buffer_load_dword v80, v87, s[24:27], 0 offen              // 000000002984: E0501000 80065057
	s_add_u32 s50, 0x80, s53                                   // 00000000298C: 803235FF 00000080
	s_cmp_lt_u32 s50, s34                                      // 000000002994: BF0A2232
	s_cselect_b32 s57, s57, 0                                  // 000000002998: 85398039
	s_add_u32 s24, s57, s24                                    // 00000000299C: 80181839
	s_addc_u32 s25, 0, s25                                     // 0000000029A0: 82191980
	s_sub_u32 s26, s26, s57                                    // 0000000029A4: 809A391A
	s_add_u32 m0, 0, s59                                       // 0000000029A8: 807C3B80
	buffer_load_dword v30, s[4:7], 0 offen lds                 // 0000000029AC: E0511000 8001001E
	s_add_u32 m0, 0x100, s59                                   // 0000000029B4: 807C3BFF 00000100
	buffer_load_dword v31, s[4:7], 0 offen lds                 // 0000000029BC: E0511000 8001001F
	s_add_u32 m0, 0x200, s59                                   // 0000000029C4: 807C3BFF 00000200
	buffer_load_dword v32, s[4:7], 0 offen lds                 // 0000000029CC: E0511000 80010020
	s_add_u32 m0, 0x300, s59                                   // 0000000029D4: 807C3BFF 00000300
	buffer_load_dword v33, s[4:7], 0 offen lds                 // 0000000029DC: E0511000 80010021
	s_mov_b32 s53, 0x80                                        // 0000000029E4: BEB500FF 00000080
	s_add_u32 s50, 0x80, s53                                   // 0000000029EC: 803235FF 00000080
	s_cmp_lt_u32 s50, s34                                      // 0000000029F4: BF0A2232
	s_cselect_b32 s54, s54, 0                                  // 0000000029F8: 85368036
	s_add_u32 s4, s54, s4                                      // 0000000029FC: 80040436
	s_addc_u32 s5, 0, s5                                       // 000000002A00: 82050580
	s_sub_u32 s6, s6, s54                                      // 000000002A04: 80863606
	buffer_load_dword v70, v83, s[20:23], 0 offen              // 000000002A08: E0501000 80054653
	buffer_load_dword v71, v84, s[20:23], 0 offen              // 000000002A10: E0501000 80054754
	s_add_u32 s50, 0x80, s53                                   // 000000002A18: 803235FF 00000080
	s_cmp_lt_u32 s50, s34                                      // 000000002A20: BF0A2232
	s_cselect_b32 s56, s56, 0                                  // 000000002A24: 85388038
	s_add_u32 s20, s56, s20                                    // 000000002A28: 80141438
	s_addc_u32 s21, 0, s21                                     // 000000002A2C: 82151580
	v_mov_b32_e32 v60, 0                                       // 000000002A30: 7E780280
	v_mov_b32_e32 v61, 0                                       // 000000002A34: 7E7A0280
	v_mov_b32_e32 v62, 0                                       // 000000002A38: 7E7C0280
	v_mov_b32_e32 v63, 0                                       // 000000002A3C: 7E7E0280
	v_mov_b32_e32 v64, 0                                       // 000000002A40: 7E800280
	v_mov_b32_e32 v65, 0                                       // 000000002A44: 7E820280
	v_mov_b32_e32 v66, 0                                       // 000000002A48: 7E840280
	v_mov_b32_e32 v67, 0                                       // 000000002A4C: 7E860280
	buffer_load_dwordx4 a[16:19], v26, s[8:11], 0 offen        // 000000002A50: E05C1000 8082101A
	buffer_load_dwordx4 a[20:23], v27, s[8:11], 0 offen        // 000000002A58: E05C1000 8082141B
	buffer_load_dwordx4 a[24:27], v28, s[8:11], 0 offen        // 000000002A60: E05C1000 8082181C
	buffer_load_dwordx4 a[28:31], v29, s[8:11], 0 offen        // 000000002A68: E05C1000 80821C1D
	s_mov_b32 s53, 0x80                                        // 000000002A70: BEB500FF 00000080
	s_add_u32 s50, 0x80, s53                                   // 000000002A78: 803235FF 00000080
	s_cmp_lt_u32 s50, s34                                      // 000000002A80: BF0A2232
	s_cselect_b32 s55, s55, 0                                  // 000000002A84: 85378037
	s_add_u32 s8, s55, s8                                      // 000000002A88: 80080837
	s_addc_u32 s9, 0, s9                                       // 000000002A8C: 82090980
	s_sub_u32 s10, s10, s55                                    // 000000002A90: 808A370A
	buffer_load_dword v81, v87, s[24:27], 0 offen              // 000000002A94: E0501000 80065157
	s_add_u32 s50, 0x80, s53                                   // 000000002A9C: 803235FF 00000080
	s_cmp_lt_u32 s50, s34                                      // 000000002AA4: BF0A2232
	s_cselect_b32 s57, s57, 0                                  // 000000002AA8: 85398039
	s_add_u32 s24, s57, s24                                    // 000000002AAC: 80181839
	s_addc_u32 s25, 0, s25                                     // 000000002AB0: 82191980
	s_sub_u32 s26, s26, s57                                    // 000000002AB4: 809A391A
	s_add_u32 m0, 0, s60                                       // 000000002AB8: 807C3C80
	buffer_load_dword v30, s[4:7], 0 offen lds                 // 000000002ABC: E0511000 8001001E
	s_add_u32 m0, 0x100, s60                                   // 000000002AC4: 807C3CFF 00000100
	buffer_load_dword v31, s[4:7], 0 offen lds                 // 000000002ACC: E0511000 8001001F
	s_add_u32 m0, 0x200, s60                                   // 000000002AD4: 807C3CFF 00000200
	buffer_load_dword v32, s[4:7], 0 offen lds                 // 000000002ADC: E0511000 80010020
	s_add_u32 m0, 0x300, s60                                   // 000000002AE4: 807C3CFF 00000300
	buffer_load_dword v33, s[4:7], 0 offen lds                 // 000000002AEC: E0511000 80010021
	s_mov_b32 s53, 0x100                                       // 000000002AF4: BEB500FF 00000100
	s_add_u32 s50, 0x80, s53                                   // 000000002AFC: 803235FF 00000080
	s_cmp_lt_u32 s50, s34                                      // 000000002B04: BF0A2232
	s_cselect_b32 s54, s54, 0                                  // 000000002B08: 85368036
	s_add_u32 s4, s54, s4                                      // 000000002B0C: 80040436
	s_addc_u32 s5, 0, s5                                       // 000000002B10: 82050580
	s_sub_u32 s6, s6, s54                                      // 000000002B14: 80863606
	buffer_load_dword v72, v83, s[20:23], 0 offen              // 000000002B18: E0501000 80054853
	buffer_load_dword v73, v84, s[20:23], 0 offen              // 000000002B20: E0501000 80054954
	s_add_u32 s50, 0x80, s53                                   // 000000002B28: 803235FF 00000080
	s_cmp_lt_u32 s50, s34                                      // 000000002B30: BF0A2232
	s_cselect_b32 s56, s56, 0                                  // 000000002B34: 85388038
	s_add_u32 s20, s56, s20                                    // 000000002B38: 80141438
	s_addc_u32 s21, 0, s21                                     // 000000002B3C: 82151580
	s_mov_b32 s43, s34                                         // 000000002B40: BEAB0022
	s_mov_b32 s42, 0                                           // 000000002B44: BEAA0080
	s_waitcnt vmcnt(22)                                        // 000000002B48: BF8C4F76
	s_barrier                                                  // 000000002B4C: BF8A0000
	ds_read_b128 a[48:51], v34                                 // 000000002B50: DBFE0000 30000022
	ds_read_b128 a[52:55], v34 offset:64                       // 000000002B58: DBFE0040 34000022
	ds_read_b128 a[56:59], v34 offset:512                      // 000000002B60: DBFE0200 38000022
	ds_read_b128 a[60:63], v34 offset:576                      // 000000002B68: DBFE0240 3C000022
	s_mov_b32 s50, 0                                           // 000000002B70: BEB20080
	s_mov_b32 s51, 1.0                                         // 000000002B74: BEB300F2
	s_cmp_eq_u32 s50, s75                                      // 000000002B78: BF064B32
	s_cselect_b32 s50, s51, 0                                  // 000000002B7C: 85328033
	v_mul_f32_e64 v12, v12, s50                                // 000000002B80: D105000C 0000650C
	v_mul_f32_e64 v13, v13, s50                                // 000000002B88: D105000D 0000650D
	v_mul_f32_e64 v14, v14, s50                                // 000000002B90: D105000E 0000650E
	v_mul_f32_e64 v15, v15, s50                                // 000000002B98: D105000F 0000650F
	v_mul_f32_e64 v16, v16, s50                                // 000000002BA0: D1050010 00006510
	v_mul_f32_e64 v17, v17, s50                                // 000000002BA8: D1050011 00006511
	v_mul_f32_e64 v18, v18, s50                                // 000000002BB0: D1050012 00006512
	v_mul_f32_e64 v19, v19, s50                                // 000000002BB8: D1050013 00006513
	v_and_b32_e64 v20, v0, 15                                  // 000000002BC0: D1130014 00011F00
	v_mul_lo_u32 v20, v20, s37                                 // 000000002BC8: D2850014 00004B14
	v_lshrrev_b32_e32 v4, 4, v0                                // 000000002BD0: 20080084
	v_mul_i32_i24_e32 v4, 8, v4                                // 000000002BD4: 0C080888
	v_add_u32_e32 v20, v4, v20                                 // 000000002BD8: 68282904
	s_mul_i32 s50, 32, s47                                     // 000000002BDC: 92322FA0
	s_mul_i32 s50, 2, s50                                      // 000000002BE0: 92323282
	v_add_u32_e32 v20, s50, v20                                // 000000002BE4: 68282832
	s_mul_i32 s50, 16, s37                                     // 000000002BE8: 92322590
	v_add_u32_e32 v21, s50, v20                                // 000000002BEC: 682A2832
	s_mul_i32 s50, s47, s37                                    // 000000002BF0: 9232252F
	v_lshlrev_b32_e32 v5, 2, v0                                // 000000002BF4: 240A0082
	v_add_u32_e32 v22, s50, v5                                 // 000000002BF8: 682C0A32
	s_mul_i32 s50, s45, 32                                     // 000000002BFC: 9232A02D
	s_add_i32 s77, s50, s47                                    // 000000002C00: 814D2F32
	s_cmp_lt_i32 s42, s43                                      // 000000002C04: BF042B2A
	s_cbranch_scc0 label_051A                                  // 000000002C08: BF8402D7

0000000000002c0c <label_0243>:
	s_waitcnt vmcnt(10) lgkmcnt(0)                             // 000000002C0C: BF8C007A
	s_barrier                                                  // 000000002C10: BF8A0000
	v_mfma_f32_16x16x32_fp8_fp8 v[36:39], a[0:1], a[48:49], 0  // 000000002C14: D3F30024 1A026100
	s_add_u32 m0, 0, s58                                       // 000000002C1C: 807C3A80
	buffer_load_dword v30, s[4:7], 0 offen lds                 // 000000002C20: E0511000 8001001E
	v_mfma_f32_16x16x32_fp8_fp8 v[36:39], a[2:3], a[50:51], v[36:39]// 000000002C28: D3F30024 1C926502
	ds_read_b128 a[64:67], v34 offset:4224                     // 000000002C30: DBFE1080 40000022
	v_mfma_f32_16x16x32_fp8_fp8 v[36:39], a[4:5], a[52:53], v[36:39]// 000000002C38: D3F30024 1C926904
	s_add_u32 m0, 0x100, s58                                   // 000000002C40: 807C3AFF 00000100
	buffer_load_dword v31, s[4:7], 0 offen lds                 // 000000002C48: E0511000 8001001F
	v_mfma_f32_16x16x32_fp8_fp8 v[36:39], a[6:7], a[54:55], v[36:39]// 000000002C50: D3F30024 1C926D06
	ds_read_b128 a[68:71], v34 offset:4288                     // 000000002C58: DBFE10C0 44000022
	v_mul_f32_e32 v4, v80, v68                                 // 000000002C60: 0A088950
	v_mov_b32_e32 v5, v4                                       // 000000002C64: 7E0A0304
	v_mfma_f32_16x16x32_fp8_fp8 v[40:43], a[8:9], a[48:49], 0  // 000000002C68: D3F30028 1A026108
	buffer_load_dwordx4 a[32:35], v26, s[8:11], 0 offen        // 000000002C70: E05C1000 8082201A
	v_mfma_f32_16x16x32_fp8_fp8 v[40:43], a[10:11], a[50:51], v[40:43]// 000000002C78: D3F30028 1CA2650A
	buffer_load_dword v68, v83, s[20:23], 0 offen              // 000000002C80: E0501000 80054453
	v_mfma_f32_16x16x32_fp8_fp8 v[40:43], a[12:13], a[52:53], v[40:43]// 000000002C88: D3F30028 1CA2690C
	buffer_load_dwordx4 a[36:39], v27, s[8:11], 0 offen        // 000000002C90: E05C1000 8082241B
	v_mfma_f32_16x16x32_fp8_fp8 v[40:43], a[14:15], a[54:55], v[40:43]// 000000002C98: D3F30028 1CA26D0E
	v_pk_fma_f32 v[52:53], v[4:5], v[36:37], v[52:53]          // 000000002CA0: D3B04034 1CD24904
	v_pk_fma_f32 v[54:55], v[4:5], v[38:39], v[54:55]          // 000000002CA8: D3B04036 1CDA4D04
	v_pk_fma_f32 v[56:57], v[4:5], v[40:41], v[56:57]          // 000000002CB0: D3B04038 1CE25104
	v_pk_fma_f32 v[58:59], v[4:5], v[42:43], v[58:59]          // 000000002CB8: D3B0403A 1CEA5504
	v_mfma_f32_16x16x32_fp8_fp8 v[44:47], a[0:1], a[56:57], 0  // 000000002CC0: D3F3002C 1A027100
	s_add_u32 m0, 0x200, s58                                   // 000000002CC8: 807C3AFF 00000200
	buffer_load_dword v32, s[4:7], 0 offen lds                 // 000000002CD0: E0511000 80010020
	v_mfma_f32_16x16x32_fp8_fp8 v[44:47], a[2:3], a[58:59], v[44:47]// 000000002CD8: D3F3002C 1CB27502
	ds_read_b128 a[72:75], v34 offset:4736                     // 000000002CE0: DBFE1280 48000022
	v_mfma_f32_16x16x32_fp8_fp8 v[44:47], a[4:5], a[60:61], v[44:47]// 000000002CE8: D3F3002C 1CB27904
	s_add_u32 m0, 0x300, s58                                   // 000000002CF0: 807C3AFF 00000300
	buffer_load_dword v33, s[4:7], 0 offen lds                 // 000000002CF8: E0511000 80010021
	v_mfma_f32_16x16x32_fp8_fp8 v[44:47], a[6:7], a[62:63], v[44:47]// 000000002D00: D3F3002C 1CB27D06
	ds_read_b128 a[76:79], v34 offset:4800                     // 000000002D08: DBFE12C0 4C000022
	v_mul_f32_e32 v4, v80, v69                                 // 000000002D10: 0A088B50
	v_mov_b32_e32 v5, v4                                       // 000000002D14: 7E0A0304
	v_mfma_f32_16x16x32_fp8_fp8 v[48:51], a[8:9], a[56:57], 0  // 000000002D18: D3F30030 1A027108
	buffer_load_dwordx4 a[40:43], v28, s[8:11], 0 offen        // 000000002D20: E05C1000 8082281C
	v_mfma_f32_16x16x32_fp8_fp8 v[48:51], a[10:11], a[58:59], v[48:51]// 000000002D28: D3F30030 1CC2750A
	buffer_load_dword v69, v84, s[20:23], 0 offen              // 000000002D30: E0501000 80054554
	s_add_u32 s50, 0x200, s42                                  // 000000002D38: 80322AFF 00000200
	s_cmp_lt_u32 s50, s43                                      // 000000002D40: BF0A2B32
	s_cselect_b32 s54, s54, 0                                  // 000000002D44: 85368036
	s_add_u32 s50, 0x180, s42                                  // 000000002D48: 80322AFF 00000180
	s_cmp_lt_u32 s50, s43                                      // 000000002D50: BF0A2B32
	s_cselect_b32 s55, s55, 0                                  // 000000002D54: 85378037
	s_add_u32 s50, 0x200, s42                                  // 000000002D58: 80322AFF 00000200
	s_cmp_lt_u32 s50, s43                                      // 000000002D60: BF0A2B32
	s_cselect_b32 s56, s56, 0                                  // 000000002D64: 85388038
	s_add_u32 s50, 0x180, s42                                  // 000000002D68: 80322AFF 00000180
	s_cmp_lt_u32 s50, s43                                      // 000000002D70: BF0A2B32
	s_cselect_b32 s57, s57, 0                                  // 000000002D74: 85398039
	v_mfma_f32_16x16x32_fp8_fp8 v[48:51], a[12:13], a[60:61], v[48:51]// 000000002D78: D3F30030 1CC2790C
	buffer_load_dwordx4 a[44:47], v29, s[8:11], 0 offen        // 000000002D80: E05C1000 80822C1D
	v_mfma_f32_16x16x32_fp8_fp8 v[48:51], a[14:15], a[62:63], v[48:51]// 000000002D88: D3F30030 1CC27D0E
	buffer_load_dword v82, v87, s[24:27], 0 offen              // 000000002D90: E0501000 80065257
	s_add_u32 s4, s54, s4                                      // 000000002D98: 80040436
	s_addc_u32 s5, 0, s5                                       // 000000002D9C: 82050580
	s_sub_u32 s6, s6, s54                                      // 000000002DA0: 80863606
	s_add_u32 s8, s55, s8                                      // 000000002DA4: 80080837
	s_addc_u32 s9, 0, s9                                       // 000000002DA8: 82090980
	s_sub_u32 s10, s10, s55                                    // 000000002DAC: 808A370A
	s_add_u32 s20, s56, s20                                    // 000000002DB0: 80141438
	s_addc_u32 s21, 0, s21                                     // 000000002DB4: 82151580
	s_add_u32 s24, s57, s24                                    // 000000002DB8: 80181839
	s_addc_u32 s25, 0, s25                                     // 000000002DBC: 82191980
	s_sub_u32 s26, s26, s57                                    // 000000002DC0: 809A391A
	v_pk_fma_f32 v[60:61], v[4:5], v[44:45], v[60:61]          // 000000002DC4: D3B0403C 1CF25904
	v_pk_fma_f32 v[62:63], v[4:5], v[46:47], v[62:63]          // 000000002DCC: D3B0403E 1CFA5D04
	v_pk_fma_f32 v[64:65], v[4:5], v[48:49], v[64:65]          // 000000002DD4: D3B04040 1D026104
	v_pk_fma_f32 v[66:67], v[4:5], v[50:51], v[66:67]          // 000000002DDC: D3B04042 1D0A6504
	s_addk_i32 s42, 0x80                                       // 000000002DE4: B72A0080
	s_cmp_lt_i32 s42, s43                                      // 000000002DE8: BF042B2A
	s_cbranch_scc0 label_051A                                  // 000000002DEC: BF84025E
	s_waitcnt vmcnt(10) lgkmcnt(0)                             // 000000002DF0: BF8C007A
	s_barrier                                                  // 000000002DF4: BF8A0000
	v_mfma_f32_16x16x32_fp8_fp8 v[36:39], a[16:17], a[64:65], 0// 000000002DF8: D3F30024 1A028110
	s_add_u32 m0, 0, s59                                       // 000000002E00: 807C3B80
	buffer_load_dword v30, s[4:7], 0 offen lds                 // 000000002E04: E0511000 8001001E
	v_mfma_f32_16x16x32_fp8_fp8 v[36:39], a[18:19], a[66:67], v[36:39]// 000000002E0C: D3F30024 1C928512
	ds_read_b128 a[48:51], v34 offset:8448                     // 000000002E14: DBFE2100 30000022
	v_mfma_f32_16x16x32_fp8_fp8 v[36:39], a[20:21], a[68:69], v[36:39]// 000000002E1C: D3F30024 1C928914
	s_add_u32 m0, 0x100, s59                                   // 000000002E24: 807C3BFF 00000100
	buffer_load_dword v31, s[4:7], 0 offen lds                 // 000000002E2C: E0511000 8001001F
	v_mfma_f32_16x16x32_fp8_fp8 v[36:39], a[22:23], a[70:71], v[36:39]// 000000002E34: D3F30024 1C928D16
	ds_read_b128 a[52:55], v34 offset:8512                     // 000000002E3C: DBFE2140 34000022
	v_mul_f32_e32 v4, v81, v70                                 // 000000002E44: 0A088D51
	v_mov_b32_e32 v5, v4                                       // 000000002E48: 7E0A0304
	v_mfma_f32_16x16x32_fp8_fp8 v[40:43], a[24:25], a[64:65], 0// 000000002E4C: D3F30028 1A028118
	buffer_load_dwordx4 a[0:3], v26, s[8:11], 0 offen          // 000000002E54: E05C1000 8082001A
	v_mfma_f32_16x16x32_fp8_fp8 v[40:43], a[26:27], a[66:67], v[40:43]// 000000002E5C: D3F30028 1CA2851A
	buffer_load_dword v70, v83, s[20:23], 0 offen              // 000000002E64: E0501000 80054653
	v_mfma_f32_16x16x32_fp8_fp8 v[40:43], a[28:29], a[68:69], v[40:43]// 000000002E6C: D3F30028 1CA2891C
	buffer_load_dwordx4 a[4:7], v27, s[8:11], 0 offen          // 000000002E74: E05C1000 8082041B
	v_mfma_f32_16x16x32_fp8_fp8 v[40:43], a[30:31], a[70:71], v[40:43]// 000000002E7C: D3F30028 1CA28D1E
	v_pk_fma_f32 v[52:53], v[4:5], v[36:37], v[52:53]          // 000000002E84: D3B04034 1CD24904
	v_pk_fma_f32 v[54:55], v[4:5], v[38:39], v[54:55]          // 000000002E8C: D3B04036 1CDA4D04
	v_pk_fma_f32 v[56:57], v[4:5], v[40:41], v[56:57]          // 000000002E94: D3B04038 1CE25104
	v_pk_fma_f32 v[58:59], v[4:5], v[42:43], v[58:59]          // 000000002E9C: D3B0403A 1CEA5504
	v_mfma_f32_16x16x32_fp8_fp8 v[44:47], a[16:17], a[72:73], 0// 000000002EA4: D3F3002C 1A029110
	s_add_u32 m0, 0x200, s59                                   // 000000002EAC: 807C3BFF 00000200
	buffer_load_dword v32, s[4:7], 0 offen lds                 // 000000002EB4: E0511000 80010020
	v_mfma_f32_16x16x32_fp8_fp8 v[44:47], a[18:19], a[74:75], v[44:47]// 000000002EBC: D3F3002C 1CB29512
	ds_read_b128 a[56:59], v34 offset:8960                     // 000000002EC4: DBFE2300 38000022
	v_mfma_f32_16x16x32_fp8_fp8 v[44:47], a[20:21], a[76:77], v[44:47]// 000000002ECC: D3F3002C 1CB29914
	s_add_u32 m0, 0x300, s59                                   // 000000002ED4: 807C3BFF 00000300
	buffer_load_dword v33, s[4:7], 0 offen lds                 // 000000002EDC: E0511000 80010021
	v_mfma_f32_16x16x32_fp8_fp8 v[44:47], a[22:23], a[78:79], v[44:47]// 000000002EE4: D3F3002C 1CB29D16
	ds_read_b128 a[60:63], v34 offset:9024                     // 000000002EEC: DBFE2340 3C000022
	v_mul_f32_e32 v4, v81, v71                                 // 000000002EF4: 0A088F51
	v_mov_b32_e32 v5, v4                                       // 000000002EF8: 7E0A0304
	v_mfma_f32_16x16x32_fp8_fp8 v[48:51], a[24:25], a[72:73], 0// 000000002EFC: D3F30030 1A029118
	buffer_load_dwordx4 a[8:11], v28, s[8:11], 0 offen         // 000000002F04: E05C1000 8082081C
	v_mfma_f32_16x16x32_fp8_fp8 v[48:51], a[26:27], a[74:75], v[48:51]// 000000002F0C: D3F30030 1CC2951A
	buffer_load_dword v71, v84, s[20:23], 0 offen              // 000000002F14: E0501000 80054754
	s_add_u32 s50, 0x200, s42                                  // 000000002F1C: 80322AFF 00000200
	s_cmp_lt_u32 s50, s43                                      // 000000002F24: BF0A2B32
	s_cselect_b32 s54, s54, 0                                  // 000000002F28: 85368036
	s_add_u32 s50, 0x180, s42                                  // 000000002F2C: 80322AFF 00000180
	s_cmp_lt_u32 s50, s43                                      // 000000002F34: BF0A2B32
	s_cselect_b32 s55, s55, 0                                  // 000000002F38: 85378037
	s_add_u32 s50, 0x200, s42                                  // 000000002F3C: 80322AFF 00000200
	s_cmp_lt_u32 s50, s43                                      // 000000002F44: BF0A2B32
	s_cselect_b32 s56, s56, 0                                  // 000000002F48: 85388038
	s_add_u32 s50, 0x180, s42                                  // 000000002F4C: 80322AFF 00000180
	s_cmp_lt_u32 s50, s43                                      // 000000002F54: BF0A2B32
	s_cselect_b32 s57, s57, 0                                  // 000000002F58: 85398039
	v_mfma_f32_16x16x32_fp8_fp8 v[48:51], a[28:29], a[76:77], v[48:51]// 000000002F5C: D3F30030 1CC2991C
	buffer_load_dwordx4 a[12:15], v29, s[8:11], 0 offen        // 000000002F64: E05C1000 80820C1D
	v_mfma_f32_16x16x32_fp8_fp8 v[48:51], a[30:31], a[78:79], v[48:51]// 000000002F6C: D3F30030 1CC29D1E
	buffer_load_dword v80, v87, s[24:27], 0 offen              // 000000002F74: E0501000 80065057
	s_add_u32 s4, s54, s4                                      // 000000002F7C: 80040436
	s_addc_u32 s5, 0, s5                                       // 000000002F80: 82050580
	s_sub_u32 s6, s6, s54                                      // 000000002F84: 80863606
	s_add_u32 s8, s55, s8                                      // 000000002F88: 80080837
	s_addc_u32 s9, 0, s9                                       // 000000002F8C: 82090980
	s_sub_u32 s10, s10, s55                                    // 000000002F90: 808A370A
	s_add_u32 s20, s56, s20                                    // 000000002F94: 80141438
	s_addc_u32 s21, 0, s21                                     // 000000002F98: 82151580
	s_add_u32 s24, s57, s24                                    // 000000002F9C: 80181839
	s_addc_u32 s25, 0, s25                                     // 000000002FA0: 82191980
	s_sub_u32 s26, s26, s57                                    // 000000002FA4: 809A391A
	v_pk_fma_f32 v[60:61], v[4:5], v[44:45], v[60:61]          // 000000002FA8: D3B0403C 1CF25904
	v_pk_fma_f32 v[62:63], v[4:5], v[46:47], v[62:63]          // 000000002FB0: D3B0403E 1CFA5D04
	v_pk_fma_f32 v[64:65], v[4:5], v[48:49], v[64:65]          // 000000002FB8: D3B04040 1D026104
	v_pk_fma_f32 v[66:67], v[4:5], v[50:51], v[66:67]          // 000000002FC0: D3B04042 1D0A6504
	s_addk_i32 s42, 0x80                                       // 000000002FC8: B72A0080
	s_cmp_lt_i32 s42, s43                                      // 000000002FCC: BF042B2A
	s_cbranch_scc0 label_051A                                  // 000000002FD0: BF8401E5
	s_waitcnt vmcnt(10) lgkmcnt(0)                             // 000000002FD4: BF8C007A
	s_barrier                                                  // 000000002FD8: BF8A0000
	v_mfma_f32_16x16x32_fp8_fp8 v[36:39], a[32:33], a[48:49], 0// 000000002FDC: D3F30024 1A026120
	s_add_u32 m0, 0, s60                                       // 000000002FE4: 807C3C80
	buffer_load_dword v30, s[4:7], 0 offen lds                 // 000000002FE8: E0511000 8001001E
	v_mfma_f32_16x16x32_fp8_fp8 v[36:39], a[34:35], a[50:51], v[36:39]// 000000002FF0: D3F30024 1C926522
	ds_read_b128 a[64:67], v34                                 // 000000002FF8: DBFE0000 40000022
	v_mfma_f32_16x16x32_fp8_fp8 v[36:39], a[36:37], a[52:53], v[36:39]// 000000003000: D3F30024 1C926924
	s_add_u32 m0, 0x100, s60                                   // 000000003008: 807C3CFF 00000100
	buffer_load_dword v31, s[4:7], 0 offen lds                 // 000000003010: E0511000 8001001F
	v_mfma_f32_16x16x32_fp8_fp8 v[36:39], a[38:39], a[54:55], v[36:39]// 000000003018: D3F30024 1C926D26
	ds_read_b128 a[68:71], v34 offset:64                       // 000000003020: DBFE0040 44000022
	v_mul_f32_e32 v4, v82, v72                                 // 000000003028: 0A089152
	v_mov_b32_e32 v5, v4                                       // 00000000302C: 7E0A0304
	v_mfma_f32_16x16x32_fp8_fp8 v[40:43], a[40:41], a[48:49], 0// 000000003030: D3F30028 1A026128
	buffer_load_dwordx4 a[16:19], v26, s[8:11], 0 offen        // 000000003038: E05C1000 8082101A
	v_mfma_f32_16x16x32_fp8_fp8 v[40:43], a[42:43], a[50:51], v[40:43]// 000000003040: D3F30028 1CA2652A
	buffer_load_dword v72, v83, s[20:23], 0 offen              // 000000003048: E0501000 80054853
	v_mfma_f32_16x16x32_fp8_fp8 v[40:43], a[44:45], a[52:53], v[40:43]// 000000003050: D3F30028 1CA2692C
	buffer_load_dwordx4 a[20:23], v27, s[8:11], 0 offen        // 000000003058: E05C1000 8082141B
	v_mfma_f32_16x16x32_fp8_fp8 v[40:43], a[46:47], a[54:55], v[40:43]// 000000003060: D3F30028 1CA26D2E
	v_pk_fma_f32 v[52:53], v[4:5], v[36:37], v[52:53]          // 000000003068: D3B04034 1CD24904
	v_pk_fma_f32 v[54:55], v[4:5], v[38:39], v[54:55]          // 000000003070: D3B04036 1CDA4D04
	v_pk_fma_f32 v[56:57], v[4:5], v[40:41], v[56:57]          // 000000003078: D3B04038 1CE25104
	v_pk_fma_f32 v[58:59], v[4:5], v[42:43], v[58:59]          // 000000003080: D3B0403A 1CEA5504
	v_mfma_f32_16x16x32_fp8_fp8 v[44:47], a[32:33], a[56:57], 0// 000000003088: D3F3002C 1A027120
	s_add_u32 m0, 0x200, s60                                   // 000000003090: 807C3CFF 00000200
	buffer_load_dword v32, s[4:7], 0 offen lds                 // 000000003098: E0511000 80010020
	v_mfma_f32_16x16x32_fp8_fp8 v[44:47], a[34:35], a[58:59], v[44:47]// 0000000030A0: D3F3002C 1CB27522
	ds_read_b128 a[72:75], v34 offset:512                      // 0000000030A8: DBFE0200 48000022
	v_mfma_f32_16x16x32_fp8_fp8 v[44:47], a[36:37], a[60:61], v[44:47]// 0000000030B0: D3F3002C 1CB27924
	s_add_u32 m0, 0x300, s60                                   // 0000000030B8: 807C3CFF 00000300
	buffer_load_dword v33, s[4:7], 0 offen lds                 // 0000000030C0: E0511000 80010021
	v_mfma_f32_16x16x32_fp8_fp8 v[44:47], a[38:39], a[62:63], v[44:47]// 0000000030C8: D3F3002C 1CB27D26
	ds_read_b128 a[76:79], v34 offset:576                      // 0000000030D0: DBFE0240 4C000022
	v_mul_f32_e32 v4, v82, v73                                 // 0000000030D8: 0A089352
	v_mov_b32_e32 v5, v4                                       // 0000000030DC: 7E0A0304
	v_mfma_f32_16x16x32_fp8_fp8 v[48:51], a[40:41], a[56:57], 0// 0000000030E0: D3F30030 1A027128
	buffer_load_dwordx4 a[24:27], v28, s[8:11], 0 offen        // 0000000030E8: E05C1000 8082181C
	v_mfma_f32_16x16x32_fp8_fp8 v[48:51], a[42:43], a[58:59], v[48:51]// 0000000030F0: D3F30030 1CC2752A
	buffer_load_dword v73, v84, s[20:23], 0 offen              // 0000000030F8: E0501000 80054954
	s_add_u32 s50, 0x200, s42                                  // 000000003100: 80322AFF 00000200
	s_cmp_lt_u32 s50, s43                                      // 000000003108: BF0A2B32
	s_cselect_b32 s54, s54, 0                                  // 00000000310C: 85368036
	s_add_u32 s50, 0x180, s42                                  // 000000003110: 80322AFF 00000180
	s_cmp_lt_u32 s50, s43                                      // 000000003118: BF0A2B32
	s_cselect_b32 s55, s55, 0                                  // 00000000311C: 85378037
	s_add_u32 s50, 0x200, s42                                  // 000000003120: 80322AFF 00000200
	s_cmp_lt_u32 s50, s43                                      // 000000003128: BF0A2B32
	s_cselect_b32 s56, s56, 0                                  // 00000000312C: 85388038
	s_add_u32 s50, 0x180, s42                                  // 000000003130: 80322AFF 00000180
	s_cmp_lt_u32 s50, s43                                      // 000000003138: BF0A2B32
	s_cselect_b32 s57, s57, 0                                  // 00000000313C: 85398039
	v_mfma_f32_16x16x32_fp8_fp8 v[48:51], a[44:45], a[60:61], v[48:51]// 000000003140: D3F30030 1CC2792C
	buffer_load_dwordx4 a[28:31], v29, s[8:11], 0 offen        // 000000003148: E05C1000 80821C1D
	v_mfma_f32_16x16x32_fp8_fp8 v[48:51], a[46:47], a[62:63], v[48:51]// 000000003150: D3F30030 1CC27D2E
	buffer_load_dword v81, v87, s[24:27], 0 offen              // 000000003158: E0501000 80065157
	s_add_u32 s4, s54, s4                                      // 000000003160: 80040436
	s_addc_u32 s5, 0, s5                                       // 000000003164: 82050580
	s_sub_u32 s6, s6, s54                                      // 000000003168: 80863606
	s_add_u32 s8, s55, s8                                      // 00000000316C: 80080837
	s_addc_u32 s9, 0, s9                                       // 000000003170: 82090980
	s_sub_u32 s10, s10, s55                                    // 000000003174: 808A370A
	s_add_u32 s20, s56, s20                                    // 000000003178: 80141438
	s_addc_u32 s21, 0, s21                                     // 00000000317C: 82151580
	s_add_u32 s24, s57, s24                                    // 000000003180: 80181839
	s_addc_u32 s25, 0, s25                                     // 000000003184: 82191980
	s_sub_u32 s26, s26, s57                                    // 000000003188: 809A391A
	v_pk_fma_f32 v[60:61], v[4:5], v[44:45], v[60:61]          // 00000000318C: D3B0403C 1CF25904
	v_pk_fma_f32 v[62:63], v[4:5], v[46:47], v[62:63]          // 000000003194: D3B0403E 1CFA5D04
	v_pk_fma_f32 v[64:65], v[4:5], v[48:49], v[64:65]          // 00000000319C: D3B04040 1D026104
	v_pk_fma_f32 v[66:67], v[4:5], v[50:51], v[66:67]          // 0000000031A4: D3B04042 1D0A6504
	s_addk_i32 s42, 0x80                                       // 0000000031AC: B72A0080
	s_cmp_lt_i32 s42, s43                                      // 0000000031B0: BF042B2A
	s_cbranch_scc0 label_051A                                  // 0000000031B4: BF84016C
	s_waitcnt vmcnt(10) lgkmcnt(0)                             // 0000000031B8: BF8C007A
	s_barrier                                                  // 0000000031BC: BF8A0000
	v_mfma_f32_16x16x32_fp8_fp8 v[36:39], a[0:1], a[64:65], 0  // 0000000031C0: D3F30024 1A028100
	s_add_u32 m0, 0, s58                                       // 0000000031C8: 807C3A80
	buffer_load_dword v30, s[4:7], 0 offen lds                 // 0000000031CC: E0511000 8001001E
	v_mfma_f32_16x16x32_fp8_fp8 v[36:39], a[2:3], a[66:67], v[36:39]// 0000000031D4: D3F30024 1C928502
	ds_read_b128 a[48:51], v34 offset:4224                     // 0000000031DC: DBFE1080 30000022
	v_mfma_f32_16x16x32_fp8_fp8 v[36:39], a[4:5], a[68:69], v[36:39]// 0000000031E4: D3F30024 1C928904
	s_add_u32 m0, 0x100, s58                                   // 0000000031EC: 807C3AFF 00000100
	buffer_load_dword v31, s[4:7], 0 offen lds                 // 0000000031F4: E0511000 8001001F
	v_mfma_f32_16x16x32_fp8_fp8 v[36:39], a[6:7], a[70:71], v[36:39]// 0000000031FC: D3F30024 1C928D06
	ds_read_b128 a[52:55], v34 offset:4288                     // 000000003204: DBFE10C0 34000022
	v_mul_f32_e32 v4, v80, v68                                 // 00000000320C: 0A088950
	v_mov_b32_e32 v5, v4                                       // 000000003210: 7E0A0304
	v_mfma_f32_16x16x32_fp8_fp8 v[40:43], a[8:9], a[64:65], 0  // 000000003214: D3F30028 1A028108
	buffer_load_dwordx4 a[32:35], v26, s[8:11], 0 offen        // 00000000321C: E05C1000 8082201A
	v_mfma_f32_16x16x32_fp8_fp8 v[40:43], a[10:11], a[66:67], v[40:43]// 000000003224: D3F30028 1CA2850A
	buffer_load_dword v68, v83, s[20:23], 0 offen              // 00000000322C: E0501000 80054453
	v_mfma_f32_16x16x32_fp8_fp8 v[40:43], a[12:13], a[68:69], v[40:43]// 000000003234: D3F30028 1CA2890C
	buffer_load_dwordx4 a[36:39], v27, s[8:11], 0 offen        // 00000000323C: E05C1000 8082241B
	v_mfma_f32_16x16x32_fp8_fp8 v[40:43], a[14:15], a[70:71], v[40:43]// 000000003244: D3F30028 1CA28D0E
	v_pk_fma_f32 v[52:53], v[4:5], v[36:37], v[52:53]          // 00000000324C: D3B04034 1CD24904
	v_pk_fma_f32 v[54:55], v[4:5], v[38:39], v[54:55]          // 000000003254: D3B04036 1CDA4D04
	v_pk_fma_f32 v[56:57], v[4:5], v[40:41], v[56:57]          // 00000000325C: D3B04038 1CE25104
	v_pk_fma_f32 v[58:59], v[4:5], v[42:43], v[58:59]          // 000000003264: D3B0403A 1CEA5504
	v_mfma_f32_16x16x32_fp8_fp8 v[44:47], a[0:1], a[72:73], 0  // 00000000326C: D3F3002C 1A029100
	s_add_u32 m0, 0x200, s58                                   // 000000003274: 807C3AFF 00000200
	buffer_load_dword v32, s[4:7], 0 offen lds                 // 00000000327C: E0511000 80010020
	v_mfma_f32_16x16x32_fp8_fp8 v[44:47], a[2:3], a[74:75], v[44:47]// 000000003284: D3F3002C 1CB29502
	ds_read_b128 a[56:59], v34 offset:4736                     // 00000000328C: DBFE1280 38000022
	v_mfma_f32_16x16x32_fp8_fp8 v[44:47], a[4:5], a[76:77], v[44:47]// 000000003294: D3F3002C 1CB29904
	s_add_u32 m0, 0x300, s58                                   // 00000000329C: 807C3AFF 00000300
	buffer_load_dword v33, s[4:7], 0 offen lds                 // 0000000032A4: E0511000 80010021
	v_mfma_f32_16x16x32_fp8_fp8 v[44:47], a[6:7], a[78:79], v[44:47]// 0000000032AC: D3F3002C 1CB29D06
	ds_read_b128 a[60:63], v34 offset:4800                     // 0000000032B4: DBFE12C0 3C000022
	v_mul_f32_e32 v4, v80, v69                                 // 0000000032BC: 0A088B50
	v_mov_b32_e32 v5, v4                                       // 0000000032C0: 7E0A0304
	v_mfma_f32_16x16x32_fp8_fp8 v[48:51], a[8:9], a[72:73], 0  // 0000000032C4: D3F30030 1A029108
	buffer_load_dwordx4 a[40:43], v28, s[8:11], 0 offen        // 0000000032CC: E05C1000 8082281C
	v_mfma_f32_16x16x32_fp8_fp8 v[48:51], a[10:11], a[74:75], v[48:51]// 0000000032D4: D3F30030 1CC2950A
	buffer_load_dword v69, v84, s[20:23], 0 offen              // 0000000032DC: E0501000 80054554
	s_add_u32 s50, 0x200, s42                                  // 0000000032E4: 80322AFF 00000200
	s_cmp_lt_u32 s50, s43                                      // 0000000032EC: BF0A2B32
	s_cselect_b32 s54, s54, 0                                  // 0000000032F0: 85368036
	s_add_u32 s50, 0x180, s42                                  // 0000000032F4: 80322AFF 00000180
	s_cmp_lt_u32 s50, s43                                      // 0000000032FC: BF0A2B32
	s_cselect_b32 s55, s55, 0                                  // 000000003300: 85378037
	s_add_u32 s50, 0x200, s42                                  // 000000003304: 80322AFF 00000200
	s_cmp_lt_u32 s50, s43                                      // 00000000330C: BF0A2B32
	s_cselect_b32 s56, s56, 0                                  // 000000003310: 85388038
	s_add_u32 s50, 0x180, s42                                  // 000000003314: 80322AFF 00000180
	s_cmp_lt_u32 s50, s43                                      // 00000000331C: BF0A2B32
	s_cselect_b32 s57, s57, 0                                  // 000000003320: 85398039
	v_mfma_f32_16x16x32_fp8_fp8 v[48:51], a[12:13], a[76:77], v[48:51]// 000000003324: D3F30030 1CC2990C
	buffer_load_dwordx4 a[44:47], v29, s[8:11], 0 offen        // 00000000332C: E05C1000 80822C1D
	v_mfma_f32_16x16x32_fp8_fp8 v[48:51], a[14:15], a[78:79], v[48:51]// 000000003334: D3F30030 1CC29D0E
	buffer_load_dword v82, v87, s[24:27], 0 offen              // 00000000333C: E0501000 80065257
	s_add_u32 s4, s54, s4                                      // 000000003344: 80040436
	s_addc_u32 s5, 0, s5                                       // 000000003348: 82050580
	s_sub_u32 s6, s6, s54                                      // 00000000334C: 80863606
	s_add_u32 s8, s55, s8                                      // 000000003350: 80080837
	s_addc_u32 s9, 0, s9                                       // 000000003354: 82090980
	s_sub_u32 s10, s10, s55                                    // 000000003358: 808A370A
	s_add_u32 s20, s56, s20                                    // 00000000335C: 80141438
	s_addc_u32 s21, 0, s21                                     // 000000003360: 82151580
	s_add_u32 s24, s57, s24                                    // 000000003364: 80181839
	s_addc_u32 s25, 0, s25                                     // 000000003368: 82191980
	s_sub_u32 s26, s26, s57                                    // 00000000336C: 809A391A
	v_pk_fma_f32 v[60:61], v[4:5], v[44:45], v[60:61]          // 000000003370: D3B0403C 1CF25904
	v_pk_fma_f32 v[62:63], v[4:5], v[46:47], v[62:63]          // 000000003378: D3B0403E 1CFA5D04
	v_pk_fma_f32 v[64:65], v[4:5], v[48:49], v[64:65]          // 000000003380: D3B04040 1D026104
	v_pk_fma_f32 v[66:67], v[4:5], v[50:51], v[66:67]          // 000000003388: D3B04042 1D0A6504
	s_addk_i32 s42, 0x80                                       // 000000003390: B72A0080
	s_cmp_lt_i32 s42, s43                                      // 000000003394: BF042B2A
	s_cbranch_scc0 label_051A                                  // 000000003398: BF8400F3
	s_waitcnt vmcnt(10) lgkmcnt(0)                             // 00000000339C: BF8C007A
	s_barrier                                                  // 0000000033A0: BF8A0000
	v_mfma_f32_16x16x32_fp8_fp8 v[36:39], a[16:17], a[48:49], 0// 0000000033A4: D3F30024 1A026110
	s_add_u32 m0, 0, s59                                       // 0000000033AC: 807C3B80
	buffer_load_dword v30, s[4:7], 0 offen lds                 // 0000000033B0: E0511000 8001001E
	v_mfma_f32_16x16x32_fp8_fp8 v[36:39], a[18:19], a[50:51], v[36:39]// 0000000033B8: D3F30024 1C926512
	ds_read_b128 a[64:67], v34 offset:8448                     // 0000000033C0: DBFE2100 40000022
	v_mfma_f32_16x16x32_fp8_fp8 v[36:39], a[20:21], a[52:53], v[36:39]// 0000000033C8: D3F30024 1C926914
	s_add_u32 m0, 0x100, s59                                   // 0000000033D0: 807C3BFF 00000100
	buffer_load_dword v31, s[4:7], 0 offen lds                 // 0000000033D8: E0511000 8001001F
	v_mfma_f32_16x16x32_fp8_fp8 v[36:39], a[22:23], a[54:55], v[36:39]// 0000000033E0: D3F30024 1C926D16
	ds_read_b128 a[68:71], v34 offset:8512                     // 0000000033E8: DBFE2140 44000022
	v_mul_f32_e32 v4, v81, v70                                 // 0000000033F0: 0A088D51
	v_mov_b32_e32 v5, v4                                       // 0000000033F4: 7E0A0304
	v_mfma_f32_16x16x32_fp8_fp8 v[40:43], a[24:25], a[48:49], 0// 0000000033F8: D3F30028 1A026118
	buffer_load_dwordx4 a[0:3], v26, s[8:11], 0 offen          // 000000003400: E05C1000 8082001A
	v_mfma_f32_16x16x32_fp8_fp8 v[40:43], a[26:27], a[50:51], v[40:43]// 000000003408: D3F30028 1CA2651A
	buffer_load_dword v70, v83, s[20:23], 0 offen              // 000000003410: E0501000 80054653
	v_mfma_f32_16x16x32_fp8_fp8 v[40:43], a[28:29], a[52:53], v[40:43]// 000000003418: D3F30028 1CA2691C
	buffer_load_dwordx4 a[4:7], v27, s[8:11], 0 offen          // 000000003420: E05C1000 8082041B
	v_mfma_f32_16x16x32_fp8_fp8 v[40:43], a[30:31], a[54:55], v[40:43]// 000000003428: D3F30028 1CA26D1E
	v_pk_fma_f32 v[52:53], v[4:5], v[36:37], v[52:53]          // 000000003430: D3B04034 1CD24904
	v_pk_fma_f32 v[54:55], v[4:5], v[38:39], v[54:55]          // 000000003438: D3B04036 1CDA4D04
	v_pk_fma_f32 v[56:57], v[4:5], v[40:41], v[56:57]          // 000000003440: D3B04038 1CE25104
	v_pk_fma_f32 v[58:59], v[4:5], v[42:43], v[58:59]          // 000000003448: D3B0403A 1CEA5504
	v_mfma_f32_16x16x32_fp8_fp8 v[44:47], a[16:17], a[56:57], 0// 000000003450: D3F3002C 1A027110
	s_add_u32 m0, 0x200, s59                                   // 000000003458: 807C3BFF 00000200
	buffer_load_dword v32, s[4:7], 0 offen lds                 // 000000003460: E0511000 80010020
	v_mfma_f32_16x16x32_fp8_fp8 v[44:47], a[18:19], a[58:59], v[44:47]// 000000003468: D3F3002C 1CB27512
	ds_read_b128 a[72:75], v34 offset:8960                     // 000000003470: DBFE2300 48000022
	v_mfma_f32_16x16x32_fp8_fp8 v[44:47], a[20:21], a[60:61], v[44:47]// 000000003478: D3F3002C 1CB27914
	s_add_u32 m0, 0x300, s59                                   // 000000003480: 807C3BFF 00000300
	buffer_load_dword v33, s[4:7], 0 offen lds                 // 000000003488: E0511000 80010021
	v_mfma_f32_16x16x32_fp8_fp8 v[44:47], a[22:23], a[62:63], v[44:47]// 000000003490: D3F3002C 1CB27D16
	ds_read_b128 a[76:79], v34 offset:9024                     // 000000003498: DBFE2340 4C000022
	v_mul_f32_e32 v4, v81, v71                                 // 0000000034A0: 0A088F51
	v_mov_b32_e32 v5, v4                                       // 0000000034A4: 7E0A0304
	v_mfma_f32_16x16x32_fp8_fp8 v[48:51], a[24:25], a[56:57], 0// 0000000034A8: D3F30030 1A027118
	buffer_load_dwordx4 a[8:11], v28, s[8:11], 0 offen         // 0000000034B0: E05C1000 8082081C
	v_mfma_f32_16x16x32_fp8_fp8 v[48:51], a[26:27], a[58:59], v[48:51]// 0000000034B8: D3F30030 1CC2751A
	buffer_load_dword v71, v84, s[20:23], 0 offen              // 0000000034C0: E0501000 80054754
	s_add_u32 s50, 0x200, s42                                  // 0000000034C8: 80322AFF 00000200
	s_cmp_lt_u32 s50, s43                                      // 0000000034D0: BF0A2B32
	s_cselect_b32 s54, s54, 0                                  // 0000000034D4: 85368036
	s_add_u32 s50, 0x180, s42                                  // 0000000034D8: 80322AFF 00000180
	s_cmp_lt_u32 s50, s43                                      // 0000000034E0: BF0A2B32
	s_cselect_b32 s55, s55, 0                                  // 0000000034E4: 85378037
	s_add_u32 s50, 0x200, s42                                  // 0000000034E8: 80322AFF 00000200
	s_cmp_lt_u32 s50, s43                                      // 0000000034F0: BF0A2B32
	s_cselect_b32 s56, s56, 0                                  // 0000000034F4: 85388038
	s_add_u32 s50, 0x180, s42                                  // 0000000034F8: 80322AFF 00000180
	s_cmp_lt_u32 s50, s43                                      // 000000003500: BF0A2B32
	s_cselect_b32 s57, s57, 0                                  // 000000003504: 85398039
	v_mfma_f32_16x16x32_fp8_fp8 v[48:51], a[28:29], a[60:61], v[48:51]// 000000003508: D3F30030 1CC2791C
	buffer_load_dwordx4 a[12:15], v29, s[8:11], 0 offen        // 000000003510: E05C1000 80820C1D
	v_mfma_f32_16x16x32_fp8_fp8 v[48:51], a[30:31], a[62:63], v[48:51]// 000000003518: D3F30030 1CC27D1E
	buffer_load_dword v80, v87, s[24:27], 0 offen              // 000000003520: E0501000 80065057
	s_add_u32 s4, s54, s4                                      // 000000003528: 80040436
	s_addc_u32 s5, 0, s5                                       // 00000000352C: 82050580
	s_sub_u32 s6, s6, s54                                      // 000000003530: 80863606
	s_add_u32 s8, s55, s8                                      // 000000003534: 80080837
	s_addc_u32 s9, 0, s9                                       // 000000003538: 82090980
	s_sub_u32 s10, s10, s55                                    // 00000000353C: 808A370A
	s_add_u32 s20, s56, s20                                    // 000000003540: 80141438
	s_addc_u32 s21, 0, s21                                     // 000000003544: 82151580
	s_add_u32 s24, s57, s24                                    // 000000003548: 80181839
	s_addc_u32 s25, 0, s25                                     // 00000000354C: 82191980
	s_sub_u32 s26, s26, s57                                    // 000000003550: 809A391A
	v_pk_fma_f32 v[60:61], v[4:5], v[44:45], v[60:61]          // 000000003554: D3B0403C 1CF25904
	v_pk_fma_f32 v[62:63], v[4:5], v[46:47], v[62:63]          // 00000000355C: D3B0403E 1CFA5D04
	v_pk_fma_f32 v[64:65], v[4:5], v[48:49], v[64:65]          // 000000003564: D3B04040 1D026104
	v_pk_fma_f32 v[66:67], v[4:5], v[50:51], v[66:67]          // 00000000356C: D3B04042 1D0A6504
	s_addk_i32 s42, 0x80                                       // 000000003574: B72A0080
	s_cmp_lt_i32 s42, s43                                      // 000000003578: BF042B2A
	s_cbranch_scc0 label_051A                                  // 00000000357C: BF84007A
	s_waitcnt vmcnt(10) lgkmcnt(0)                             // 000000003580: BF8C007A
	s_barrier                                                  // 000000003584: BF8A0000
	v_mfma_f32_16x16x32_fp8_fp8 v[36:39], a[32:33], a[64:65], 0// 000000003588: D3F30024 1A028120
	s_add_u32 m0, 0, s60                                       // 000000003590: 807C3C80
	buffer_load_dword v30, s[4:7], 0 offen lds                 // 000000003594: E0511000 8001001E
	v_mfma_f32_16x16x32_fp8_fp8 v[36:39], a[34:35], a[66:67], v[36:39]// 00000000359C: D3F30024 1C928522
	ds_read_b128 a[48:51], v34                                 // 0000000035A4: DBFE0000 30000022
	v_mfma_f32_16x16x32_fp8_fp8 v[36:39], a[36:37], a[68:69], v[36:39]// 0000000035AC: D3F30024 1C928924
	s_add_u32 m0, 0x100, s60                                   // 0000000035B4: 807C3CFF 00000100
	buffer_load_dword v31, s[4:7], 0 offen lds                 // 0000000035BC: E0511000 8001001F
	v_mfma_f32_16x16x32_fp8_fp8 v[36:39], a[38:39], a[70:71], v[36:39]// 0000000035C4: D3F30024 1C928D26
	ds_read_b128 a[52:55], v34 offset:64                       // 0000000035CC: DBFE0040 34000022
	v_mul_f32_e32 v4, v82, v72                                 // 0000000035D4: 0A089152
	v_mov_b32_e32 v5, v4                                       // 0000000035D8: 7E0A0304
	v_mfma_f32_16x16x32_fp8_fp8 v[40:43], a[40:41], a[64:65], 0// 0000000035DC: D3F30028 1A028128
	buffer_load_dwordx4 a[16:19], v26, s[8:11], 0 offen        // 0000000035E4: E05C1000 8082101A
	v_mfma_f32_16x16x32_fp8_fp8 v[40:43], a[42:43], a[66:67], v[40:43]// 0000000035EC: D3F30028 1CA2852A
	buffer_load_dword v72, v83, s[20:23], 0 offen              // 0000000035F4: E0501000 80054853
	v_mfma_f32_16x16x32_fp8_fp8 v[40:43], a[44:45], a[68:69], v[40:43]// 0000000035FC: D3F30028 1CA2892C
	buffer_load_dwordx4 a[20:23], v27, s[8:11], 0 offen        // 000000003604: E05C1000 8082141B
	v_mfma_f32_16x16x32_fp8_fp8 v[40:43], a[46:47], a[70:71], v[40:43]// 00000000360C: D3F30028 1CA28D2E
	v_pk_fma_f32 v[52:53], v[4:5], v[36:37], v[52:53]          // 000000003614: D3B04034 1CD24904
	v_pk_fma_f32 v[54:55], v[4:5], v[38:39], v[54:55]          // 00000000361C: D3B04036 1CDA4D04
	v_pk_fma_f32 v[56:57], v[4:5], v[40:41], v[56:57]          // 000000003624: D3B04038 1CE25104
	v_pk_fma_f32 v[58:59], v[4:5], v[42:43], v[58:59]          // 00000000362C: D3B0403A 1CEA5504
	v_mfma_f32_16x16x32_fp8_fp8 v[44:47], a[32:33], a[72:73], 0// 000000003634: D3F3002C 1A029120
	s_add_u32 m0, 0x200, s60                                   // 00000000363C: 807C3CFF 00000200
	buffer_load_dword v32, s[4:7], 0 offen lds                 // 000000003644: E0511000 80010020
	v_mfma_f32_16x16x32_fp8_fp8 v[44:47], a[34:35], a[74:75], v[44:47]// 00000000364C: D3F3002C 1CB29522
	ds_read_b128 a[56:59], v34 offset:512                      // 000000003654: DBFE0200 38000022
	v_mfma_f32_16x16x32_fp8_fp8 v[44:47], a[36:37], a[76:77], v[44:47]// 00000000365C: D3F3002C 1CB29924
	s_add_u32 m0, 0x300, s60                                   // 000000003664: 807C3CFF 00000300
	buffer_load_dword v33, s[4:7], 0 offen lds                 // 00000000366C: E0511000 80010021
	v_mfma_f32_16x16x32_fp8_fp8 v[44:47], a[38:39], a[78:79], v[44:47]// 000000003674: D3F3002C 1CB29D26
	ds_read_b128 a[60:63], v34 offset:576                      // 00000000367C: DBFE0240 3C000022
	v_mul_f32_e32 v4, v82, v73                                 // 000000003684: 0A089352
	v_mov_b32_e32 v5, v4                                       // 000000003688: 7E0A0304
	v_mfma_f32_16x16x32_fp8_fp8 v[48:51], a[40:41], a[72:73], 0// 00000000368C: D3F30030 1A029128
	buffer_load_dwordx4 a[24:27], v28, s[8:11], 0 offen        // 000000003694: E05C1000 8082181C
	v_mfma_f32_16x16x32_fp8_fp8 v[48:51], a[42:43], a[74:75], v[48:51]// 00000000369C: D3F30030 1CC2952A
	buffer_load_dword v73, v84, s[20:23], 0 offen              // 0000000036A4: E0501000 80054954
	s_add_u32 s50, 0x200, s42                                  // 0000000036AC: 80322AFF 00000200
	s_cmp_lt_u32 s50, s43                                      // 0000000036B4: BF0A2B32
	s_cselect_b32 s54, s54, 0                                  // 0000000036B8: 85368036
	s_add_u32 s50, 0x180, s42                                  // 0000000036BC: 80322AFF 00000180
	s_cmp_lt_u32 s50, s43                                      // 0000000036C4: BF0A2B32
	s_cselect_b32 s55, s55, 0                                  // 0000000036C8: 85378037
	s_add_u32 s50, 0x200, s42                                  // 0000000036CC: 80322AFF 00000200
	s_cmp_lt_u32 s50, s43                                      // 0000000036D4: BF0A2B32
	s_cselect_b32 s56, s56, 0                                  // 0000000036D8: 85388038
	s_add_u32 s50, 0x180, s42                                  // 0000000036DC: 80322AFF 00000180
	s_cmp_lt_u32 s50, s43                                      // 0000000036E4: BF0A2B32
	s_cselect_b32 s57, s57, 0                                  // 0000000036E8: 85398039
	v_mfma_f32_16x16x32_fp8_fp8 v[48:51], a[44:45], a[76:77], v[48:51]// 0000000036EC: D3F30030 1CC2992C
	buffer_load_dwordx4 a[28:31], v29, s[8:11], 0 offen        // 0000000036F4: E05C1000 80821C1D
	v_mfma_f32_16x16x32_fp8_fp8 v[48:51], a[46:47], a[78:79], v[48:51]// 0000000036FC: D3F30030 1CC29D2E
	buffer_load_dword v81, v87, s[24:27], 0 offen              // 000000003704: E0501000 80065157
	s_add_u32 s4, s54, s4                                      // 00000000370C: 80040436
	s_addc_u32 s5, 0, s5                                       // 000000003710: 82050580
	s_sub_u32 s6, s6, s54                                      // 000000003714: 80863606
	s_add_u32 s8, s55, s8                                      // 000000003718: 80080837
	s_addc_u32 s9, 0, s9                                       // 00000000371C: 82090980
	s_sub_u32 s10, s10, s55                                    // 000000003720: 808A370A
	s_add_u32 s20, s56, s20                                    // 000000003724: 80141438
	s_addc_u32 s21, 0, s21                                     // 000000003728: 82151580
	s_add_u32 s24, s57, s24                                    // 00000000372C: 80181839
	s_addc_u32 s25, 0, s25                                     // 000000003730: 82191980
	s_sub_u32 s26, s26, s57                                    // 000000003734: 809A391A
	v_pk_fma_f32 v[60:61], v[4:5], v[44:45], v[60:61]          // 000000003738: D3B0403C 1CF25904
	v_pk_fma_f32 v[62:63], v[4:5], v[46:47], v[62:63]          // 000000003740: D3B0403E 1CFA5D04
	v_pk_fma_f32 v[64:65], v[4:5], v[48:49], v[64:65]          // 000000003748: D3B04040 1D026104
	v_pk_fma_f32 v[66:67], v[4:5], v[50:51], v[66:67]          // 000000003750: D3B04042 1D0A6504
	s_addk_i32 s42, 0x80                                       // 000000003758: B72A0080
	s_cmp_lt_i32 s42, s43                                      // 00000000375C: BF042B2A
	s_cbranch_scc0 label_051A                                  // 000000003760: BF840001
	s_branch label_0243                                        // 000000003764: BF82FD29

0000000000003768 <label_051A>:
	s_cmp_eq_u32 s38, 1                                        // 000000003768: BF068126
	s_cbranch_scc1 label_05AE                                  // 00000000376C: BF850092
	v_add_f32_e32 v52, v52, v12                                // 000000003770: 02681934
	v_add_f32_e32 v53, v53, v13                                // 000000003774: 026A1B35
	v_perm_b32 v36, v53, v52, s48                              // 000000003778: D1ED0024 00C26935
	v_add_f32_e32 v54, v54, v14                                // 000000003780: 026C1D36
	v_add_f32_e32 v55, v55, v15                                // 000000003784: 026E1F37
	v_perm_b32 v37, v55, v54, s48                              // 000000003788: D1ED0025 00C26D37
	v_add_f32_e32 v56, v56, v16                                // 000000003790: 02702138
	v_add_f32_e32 v57, v57, v17                                // 000000003794: 02722339
	v_perm_b32 v38, v57, v56, s48                              // 000000003798: D1ED0026 00C27139
	v_add_f32_e32 v58, v58, v18                                // 0000000037A0: 0274253A
	v_add_f32_e32 v59, v59, v19                                // 0000000037A4: 0276273B
	v_perm_b32 v39, v59, v58, s48                              // 0000000037A8: D1ED0027 00C2753B
	v_add_f32_e32 v60, v60, v12                                // 0000000037B0: 0278193C
	v_add_f32_e32 v61, v61, v13                                // 0000000037B4: 027A1B3D
	v_perm_b32 v40, v61, v60, s48                              // 0000000037B8: D1ED0028 00C2793D
	v_add_f32_e32 v62, v62, v14                                // 0000000037C0: 027C1D3E
	v_add_f32_e32 v63, v63, v15                                // 0000000037C4: 027E1F3F
	v_perm_b32 v41, v63, v62, s48                              // 0000000037C8: D1ED0029 00C27D3F
	v_add_f32_e32 v64, v64, v16                                // 0000000037D0: 02802140
	v_add_f32_e32 v65, v65, v17                                // 0000000037D4: 02822341
	v_perm_b32 v42, v65, v64, s48                              // 0000000037D8: D1ED002A 00C28141
	v_add_f32_e32 v66, v66, v18                                // 0000000037E0: 02842542
	v_add_f32_e32 v67, v67, v19                                // 0000000037E4: 02862743
	v_perm_b32 v43, v67, v66, s48                              // 0000000037E8: D1ED002B 00C28543
	v_lshrrev_b32_e32 v4, 4, v0                                // 0000000037F0: 20080084
	v_mul_u32_u24_e32 v34, 34, v4                              // 0000000037F4: 104408A2
	v_and_b32_e32 v4, 15, v0                                   // 0000000037F8: 2608008F
	v_mul_lo_u32 v5, 2, v4                                     // 0000000037FC: D2850005 00020882
	v_add_u32_e32 v34, v5, v34                                 // 000000003804: 68444505
	s_mul_i32 s50, s47, 0x110                                  // 000000003808: 9232FF2F 00000110
	v_add_u32_e32 v34, s50, v34                                // 000000003810: 68444432
	v_lshlrev_b32_e32 v34, 2, v34                              // 000000003814: 24444482
	v_lshrrev_b32_e32 v4, 1, v0                                // 000000003818: 20080081
	v_mul_u32_u24_e32 v30, 34, v4                              // 00000000381C: 103C08A2
	v_and_b32_e32 v5, 1, v0                                    // 000000003820: 260A0081
	v_add_u32_e32 v30, v5, v30                                 // 000000003824: 683C3D05
	s_mul_i32 s50, s47, 2                                      // 000000003828: 9232822F
	v_add_u32_e32 v30, s50, v30                                // 00000000382C: 683C3C32
	v_lshlrev_b32_e32 v30, 2, v30                              // 000000003830: 243C3C82
	s_waitcnt vmcnt(0) expcnt(0) lgkmcnt(0)                    // 000000003834: BF8C0000
	s_barrier                                                  // 000000003838: BF8A0000
	ds_write_b64 v34, v[36:37]                                 // 00000000383C: D89A0000 00002422
	ds_write_b64 v34, v[38:39] offset:544                      // 000000003844: D89A0220 00002622
	ds_write_b64 v34, v[40:41] offset:4352                     // 00000000384C: D89A1100 00002822
	ds_write_b64 v34, v[42:43] offset:4896                     // 000000003854: D89A1320 00002A22
	s_waitcnt lgkmcnt(0)                                       // 00000000385C: BF8CC07F
	s_barrier                                                  // 000000003860: BF8A0000
	ds_read_b32 v36, v30                                       // 000000003864: D86C0000 2400001E
	ds_read_b32 v37, v30 offset:32                             // 00000000386C: D86C0020 2500001E
	ds_read_b32 v38, v30 offset:64                             // 000000003874: D86C0040 2600001E
	ds_read_b32 v39, v30 offset:96                             // 00000000387C: D86C0060 2700001E
	ds_read_b32 v40, v30 offset:4352                           // 000000003884: D86C1100 2800001E
	ds_read_b32 v41, v30 offset:4384                           // 00000000388C: D86C1120 2900001E
	ds_read_b32 v42, v30 offset:4416                           // 000000003894: D86C1140 2A00001E
	ds_read_b32 v43, v30 offset:4448                           // 00000000389C: D86C1160 2B00001E
	s_waitcnt lgkmcnt(0)                                       // 0000000038A4: BF8CC07F
	s_barrier                                                  // 0000000038A8: BF8A0000
	s_mul_i32 s50, s37, 4                                      // 0000000038AC: 92328425
	s_mul_i32 s51, s37, 8                                      // 0000000038B0: 92338825
	s_mul_i32 s52, s37, 16                                     // 0000000038B4: 92349025
	v_mov_b32_e32 v4, v22                                      // 0000000038B8: 7E080316
	v_mov_b32_e32 v5, 0                                        // 0000000038BC: 7E0A0280
	v_mov_b32_e32 v7, 0                                        // 0000000038C0: 7E0E0280
	v_mov_b32_e32 v9, 0                                        // 0000000038C4: 7E120280
	v_mov_b32_e32 v11, 0                                       // 0000000038C8: 7E160280
	v_mov_b32_e32 v6, v4                                       // 0000000038CC: 7E0C0304
	v_add_u32_e64 v10, v4, s51                                 // 0000000038D0: D134000A 00006704
	s_cmp_ge_u32 s77, s32                                      // 0000000038D8: BF09204D
	s_cbranch_scc1 label_05D6                                  // 0000000038DC: BF85005E
	global_atomic_pk_add_bf16 v6, v36, s[80:81]                // 0000000038E0: DD488000 00502406
	v_add_u32_e64 v8, v6, s50                                  // 0000000038E8: D1340008 00006506
	s_add_i32 s77, s77, 4                                      // 0000000038F0: 814D844D
	s_cmp_ge_u32 s77, s32                                      // 0000000038F4: BF09204D
	s_cbranch_scc1 label_05D6                                  // 0000000038F8: BF850057
	global_atomic_pk_add_bf16 v8, v37, s[80:81]                // 0000000038FC: DD488000 00502508
	s_add_i32 s77, s77, 4                                      // 000000003904: 814D844D
	s_cmp_ge_u32 s77, s32                                      // 000000003908: BF09204D
	s_cbranch_scc1 label_05D6                                  // 00000000390C: BF850052
	global_atomic_pk_add_bf16 v10, v38, s[80:81]               // 000000003910: DD488000 0050260A
	v_add_u32_e64 v12, v10, s50                                // 000000003918: D134000C 0000650A
	s_add_i32 s77, s77, 4                                      // 000000003920: 814D844D
	s_cmp_ge_u32 s77, s32                                      // 000000003924: BF09204D
	s_cbranch_scc1 label_05D6                                  // 000000003928: BF85004B
	global_atomic_pk_add_bf16 v12, v39, s[80:81]               // 00000000392C: DD488000 0050270C
	s_add_i32 s77, s77, 4                                      // 000000003934: 814D844D
	v_add_u32_e64 v4, v4, s52                                  // 000000003938: D1340004 00006904
	v_mov_b32_e32 v6, v4                                       // 000000003940: 7E0C0304
	v_add_u32_e64 v10, v4, s51                                 // 000000003944: D134000A 00006704
	s_cmp_ge_u32 s77, s32                                      // 00000000394C: BF09204D
	s_cbranch_scc1 label_05D6                                  // 000000003950: BF850041
	global_atomic_pk_add_bf16 v6, v40, s[80:81]                // 000000003954: DD488000 00502806
	v_add_u32_e64 v8, v6, s50                                  // 00000000395C: D1340008 00006506
	s_add_i32 s77, s77, 4                                      // 000000003964: 814D844D
	s_cmp_ge_u32 s77, s32                                      // 000000003968: BF09204D
	s_cbranch_scc1 label_05D6                                  // 00000000396C: BF85003A
	global_atomic_pk_add_bf16 v8, v41, s[80:81]                // 000000003970: DD488000 00502908
	s_add_i32 s77, s77, 4                                      // 000000003978: 814D844D
	s_cmp_ge_u32 s77, s32                                      // 00000000397C: BF09204D
	s_cbranch_scc1 label_05D6                                  // 000000003980: BF850035
	global_atomic_pk_add_bf16 v10, v42, s[80:81]               // 000000003984: DD488000 00502A0A
	v_add_u32_e64 v12, v10, s50                                // 00000000398C: D134000C 0000650A
	s_add_i32 s77, s77, 4                                      // 000000003994: 814D844D
	s_cmp_ge_u32 s77, s32                                      // 000000003998: BF09204D
	s_cbranch_scc1 label_05D6                                  // 00000000399C: BF85002E
	global_atomic_pk_add_bf16 v12, v43, s[80:81]               // 0000000039A0: DD488000 00502B0C
	s_add_i32 s77, s77, 4                                      // 0000000039A8: 814D844D
	v_add_u32_e64 v4, v4, s52                                  // 0000000039AC: D1340004 00006904
	s_branch label_05D6                                        // 0000000039B4: BF820028

00000000000039b8 <label_05AE>:
	v_add_f32_e32 v52, v52, v12                                // 0000000039B8: 02681934
	v_add_f32_e32 v53, v53, v13                                // 0000000039BC: 026A1B35
	v_perm_b32 v36, v53, v52, s48                              // 0000000039C0: D1ED0024 00C26935
	v_add_f32_e32 v54, v54, v14                                // 0000000039C8: 026C1D36
	v_add_f32_e32 v55, v55, v15                                // 0000000039CC: 026E1F37
	v_perm_b32 v37, v55, v54, s48                              // 0000000039D0: D1ED0025 00C26D37
	buffer_store_dwordx2 v[36:37], v20, s[16:19], 0 offen      // 0000000039D8: E0741000 80042414
	v_add_f32_e32 v56, v56, v16                                // 0000000039E0: 02702138
	v_add_f32_e32 v57, v57, v17                                // 0000000039E4: 02722339
	v_perm_b32 v38, v57, v56, s48                              // 0000000039E8: D1ED0026 00C27139
	v_add_f32_e32 v58, v58, v18                                // 0000000039F0: 0274253A
	v_add_f32_e32 v59, v59, v19                                // 0000000039F4: 0276273B
	v_perm_b32 v39, v59, v58, s48                              // 0000000039F8: D1ED0027 00C2753B
	buffer_store_dwordx2 v[38:39], v20, s[16:19], 0 offen offset:32// 000000003A00: E0741020 80042614
	v_add_f32_e32 v60, v60, v12                                // 000000003A08: 0278193C
	v_add_f32_e32 v61, v61, v13                                // 000000003A0C: 027A1B3D
	v_perm_b32 v40, v61, v60, s48                              // 000000003A10: D1ED0028 00C2793D
	v_add_f32_e32 v62, v62, v14                                // 000000003A18: 027C1D3E
	v_add_f32_e32 v63, v63, v15                                // 000000003A1C: 027E1F3F
	v_perm_b32 v41, v63, v62, s48                              // 000000003A20: D1ED0029 00C27D3F
	buffer_store_dwordx2 v[40:41], v21, s[16:19], 0 offen      // 000000003A28: E0741000 80042815
	v_add_f32_e32 v64, v64, v16                                // 000000003A30: 02802140
	v_add_f32_e32 v65, v65, v17                                // 000000003A34: 02822341
	v_perm_b32 v42, v65, v64, s48                              // 000000003A38: D1ED002A 00C28141
	v_add_f32_e32 v66, v66, v18                                // 000000003A40: 02842542
	v_add_f32_e32 v67, v67, v19                                // 000000003A44: 02862743
	v_perm_b32 v43, v67, v66, s48                              // 000000003A48: D1ED002B 00C28543
	buffer_store_dwordx2 v[42:43], v21, s[16:19], 0 offen offset:32// 000000003A50: E0741020 80042A15

0000000000003a58 <label_05D6>:
	s_waitcnt vmcnt(0) expcnt(0) lgkmcnt(0)                    // 000000003A58: BF8C0000
	s_endpgm                                                   // 000000003A5C: BF810000
